;; amdgpu-corpus repo=ROCm/rocSPARSE kind=compiled arch=gfx906 opt=O3
	.amdgcn_target "amdgcn-amd-amdhsa--gfx906"
	.amdhsa_code_object_version 6
	.section	.text._ZN9rocsparseL36csrmmnn_nnz_split_compute_row_limitsILj256ELj256EiiEEvT2_T1_S2_PKS2_PS1_21rocsparse_index_base_,"axG",@progbits,_ZN9rocsparseL36csrmmnn_nnz_split_compute_row_limitsILj256ELj256EiiEEvT2_T1_S2_PKS2_PS1_21rocsparse_index_base_,comdat
	.globl	_ZN9rocsparseL36csrmmnn_nnz_split_compute_row_limitsILj256ELj256EiiEEvT2_T1_S2_PKS2_PS1_21rocsparse_index_base_ ; -- Begin function _ZN9rocsparseL36csrmmnn_nnz_split_compute_row_limitsILj256ELj256EiiEEvT2_T1_S2_PKS2_PS1_21rocsparse_index_base_
	.p2align	8
	.type	_ZN9rocsparseL36csrmmnn_nnz_split_compute_row_limitsILj256ELj256EiiEEvT2_T1_S2_PKS2_PS1_21rocsparse_index_base_,@function
_ZN9rocsparseL36csrmmnn_nnz_split_compute_row_limitsILj256ELj256EiiEEvT2_T1_S2_PKS2_PS1_21rocsparse_index_base_: ; @_ZN9rocsparseL36csrmmnn_nnz_split_compute_row_limitsILj256ELj256EiiEEvT2_T1_S2_PKS2_PS1_21rocsparse_index_base_
; %bb.0:
	s_load_dwordx2 s[12:13], s[4:5], 0x0
	v_lshl_or_b32 v0, s6, 8, v0
	s_waitcnt lgkmcnt(0)
	v_cmp_gt_i32_e32 vcc, s13, v0
	s_and_saveexec_b64 s[0:1], vcc
	s_cbranch_execz .LBB0_7
; %bb.1:
	s_load_dwordx4 s[8:11], s[4:5], 0x10
	s_load_dword s14, s[4:5], 0x20
	v_lshlrev_b32_e32 v1, 8, v0
	v_mov_b32_e32 v2, 0
	s_waitcnt lgkmcnt(0)
	s_load_dword s0, s[8:9], 0x0
	s_waitcnt lgkmcnt(0)
	s_sub_i32 s0, s0, s14
	s_cmp_gt_i32 s12, 1
	v_cmp_lt_i32_e32 vcc, s0, v1
	s_cselect_b64 s[0:1], -1, 0
	s_and_b64 s[0:1], vcc, s[0:1]
	s_and_saveexec_b64 s[4:5], s[0:1]
	s_cbranch_execz .LBB0_5
; %bb.2:
	s_lshr_b32 s0, s12, 1
	v_mov_b32_e32 v5, 0
	s_mov_b64 s[6:7], 0
	v_mov_b32_e32 v4, s0
	v_mov_b32_e32 v6, s12
	;; [unrolled: 1-line block ×4, first 2 shown]
.LBB0_3:                                ; =>This Inner Loop Header: Depth=1
	v_lshlrev_b64 v[8:9], 2, v[4:5]
	v_mov_b32_e32 v3, v5
	v_add_co_u32_e32 v8, vcc, s8, v8
	v_addc_co_u32_e32 v9, vcc, v7, v9, vcc
	global_load_dword v8, v[8:9], off
	s_waitcnt vmcnt(0)
	v_subrev_u32_e32 v8, s14, v8
	v_cmp_gt_i32_e32 vcc, v8, v1
	v_cndmask_b32_e32 v2, v4, v2, vcc
	v_lshlrev_b64 v[8:9], 2, v[2:3]
	v_cndmask_b32_e32 v6, v6, v4, vcc
	v_add_co_u32_e64 v8, s[0:1], s8, v8
	v_addc_co_u32_e64 v9, s[0:1], v7, v9, s[0:1]
	global_load_dword v3, v[8:9], off
	v_add_u32_e32 v4, v2, v6
	v_lshrrev_b32_e32 v4, 1, v4
	v_cmp_ge_i32_e32 vcc, v2, v4
	v_cmp_le_i32_e64 s[0:1], v6, v4
	s_waitcnt vmcnt(0)
	v_subrev_u32_e32 v3, s14, v3
	v_cmp_ge_i32_e64 s[2:3], v3, v1
	s_or_b64 s[2:3], s[2:3], vcc
	s_or_b64 s[0:1], s[2:3], s[0:1]
	s_and_b64 s[0:1], exec, s[0:1]
	s_or_b64 s[6:7], s[0:1], s[6:7]
	s_andn2_b64 exec, exec, s[6:7]
	s_cbranch_execnz .LBB0_3
; %bb.4:
	s_or_b64 exec, exec, s[6:7]
.LBB0_5:
	s_or_b64 exec, exec, s[4:5]
	v_ashrrev_i32_e32 v1, 31, v0
	v_lshlrev_b64 v[3:4], 2, v[0:1]
	v_mov_b32_e32 v1, s11
	v_add_co_u32_e32 v3, vcc, s10, v3
	v_addc_co_u32_e32 v4, vcc, v1, v4, vcc
	s_add_i32 s0, s13, -1
	v_cmp_eq_u32_e32 vcc, s0, v0
	global_store_dword v[3:4], v2, off
	s_and_b64 exec, exec, vcc
	s_cbranch_execz .LBB0_7
; %bb.6:
	v_mov_b32_e32 v0, s12
	global_store_dword v[3:4], v0, off offset:4
.LBB0_7:
	s_endpgm
	.section	.rodata,"a",@progbits
	.p2align	6, 0x0
	.amdhsa_kernel _ZN9rocsparseL36csrmmnn_nnz_split_compute_row_limitsILj256ELj256EiiEEvT2_T1_S2_PKS2_PS1_21rocsparse_index_base_
		.amdhsa_group_segment_fixed_size 0
		.amdhsa_private_segment_fixed_size 0
		.amdhsa_kernarg_size 36
		.amdhsa_user_sgpr_count 6
		.amdhsa_user_sgpr_private_segment_buffer 1
		.amdhsa_user_sgpr_dispatch_ptr 0
		.amdhsa_user_sgpr_queue_ptr 0
		.amdhsa_user_sgpr_kernarg_segment_ptr 1
		.amdhsa_user_sgpr_dispatch_id 0
		.amdhsa_user_sgpr_flat_scratch_init 0
		.amdhsa_user_sgpr_private_segment_size 0
		.amdhsa_uses_dynamic_stack 0
		.amdhsa_system_sgpr_private_segment_wavefront_offset 0
		.amdhsa_system_sgpr_workgroup_id_x 1
		.amdhsa_system_sgpr_workgroup_id_y 0
		.amdhsa_system_sgpr_workgroup_id_z 0
		.amdhsa_system_sgpr_workgroup_info 0
		.amdhsa_system_vgpr_workitem_id 0
		.amdhsa_next_free_vgpr 10
		.amdhsa_next_free_sgpr 15
		.amdhsa_reserve_vcc 1
		.amdhsa_reserve_flat_scratch 0
		.amdhsa_float_round_mode_32 0
		.amdhsa_float_round_mode_16_64 0
		.amdhsa_float_denorm_mode_32 3
		.amdhsa_float_denorm_mode_16_64 3
		.amdhsa_dx10_clamp 1
		.amdhsa_ieee_mode 1
		.amdhsa_fp16_overflow 0
		.amdhsa_exception_fp_ieee_invalid_op 0
		.amdhsa_exception_fp_denorm_src 0
		.amdhsa_exception_fp_ieee_div_zero 0
		.amdhsa_exception_fp_ieee_overflow 0
		.amdhsa_exception_fp_ieee_underflow 0
		.amdhsa_exception_fp_ieee_inexact 0
		.amdhsa_exception_int_div_zero 0
	.end_amdhsa_kernel
	.section	.text._ZN9rocsparseL36csrmmnn_nnz_split_compute_row_limitsILj256ELj256EiiEEvT2_T1_S2_PKS2_PS1_21rocsparse_index_base_,"axG",@progbits,_ZN9rocsparseL36csrmmnn_nnz_split_compute_row_limitsILj256ELj256EiiEEvT2_T1_S2_PKS2_PS1_21rocsparse_index_base_,comdat
.Lfunc_end0:
	.size	_ZN9rocsparseL36csrmmnn_nnz_split_compute_row_limitsILj256ELj256EiiEEvT2_T1_S2_PKS2_PS1_21rocsparse_index_base_, .Lfunc_end0-_ZN9rocsparseL36csrmmnn_nnz_split_compute_row_limitsILj256ELj256EiiEEvT2_T1_S2_PKS2_PS1_21rocsparse_index_base_
                                        ; -- End function
	.set _ZN9rocsparseL36csrmmnn_nnz_split_compute_row_limitsILj256ELj256EiiEEvT2_T1_S2_PKS2_PS1_21rocsparse_index_base_.num_vgpr, 10
	.set _ZN9rocsparseL36csrmmnn_nnz_split_compute_row_limitsILj256ELj256EiiEEvT2_T1_S2_PKS2_PS1_21rocsparse_index_base_.num_agpr, 0
	.set _ZN9rocsparseL36csrmmnn_nnz_split_compute_row_limitsILj256ELj256EiiEEvT2_T1_S2_PKS2_PS1_21rocsparse_index_base_.numbered_sgpr, 15
	.set _ZN9rocsparseL36csrmmnn_nnz_split_compute_row_limitsILj256ELj256EiiEEvT2_T1_S2_PKS2_PS1_21rocsparse_index_base_.num_named_barrier, 0
	.set _ZN9rocsparseL36csrmmnn_nnz_split_compute_row_limitsILj256ELj256EiiEEvT2_T1_S2_PKS2_PS1_21rocsparse_index_base_.private_seg_size, 0
	.set _ZN9rocsparseL36csrmmnn_nnz_split_compute_row_limitsILj256ELj256EiiEEvT2_T1_S2_PKS2_PS1_21rocsparse_index_base_.uses_vcc, 1
	.set _ZN9rocsparseL36csrmmnn_nnz_split_compute_row_limitsILj256ELj256EiiEEvT2_T1_S2_PKS2_PS1_21rocsparse_index_base_.uses_flat_scratch, 0
	.set _ZN9rocsparseL36csrmmnn_nnz_split_compute_row_limitsILj256ELj256EiiEEvT2_T1_S2_PKS2_PS1_21rocsparse_index_base_.has_dyn_sized_stack, 0
	.set _ZN9rocsparseL36csrmmnn_nnz_split_compute_row_limitsILj256ELj256EiiEEvT2_T1_S2_PKS2_PS1_21rocsparse_index_base_.has_recursion, 0
	.set _ZN9rocsparseL36csrmmnn_nnz_split_compute_row_limitsILj256ELj256EiiEEvT2_T1_S2_PKS2_PS1_21rocsparse_index_base_.has_indirect_call, 0
	.section	.AMDGPU.csdata,"",@progbits
; Kernel info:
; codeLenInByte = 340
; TotalNumSgprs: 19
; NumVgprs: 10
; ScratchSize: 0
; MemoryBound: 0
; FloatMode: 240
; IeeeMode: 1
; LDSByteSize: 0 bytes/workgroup (compile time only)
; SGPRBlocks: 2
; VGPRBlocks: 2
; NumSGPRsForWavesPerEU: 19
; NumVGPRsForWavesPerEU: 10
; Occupancy: 10
; WaveLimiterHint : 0
; COMPUTE_PGM_RSRC2:SCRATCH_EN: 0
; COMPUTE_PGM_RSRC2:USER_SGPR: 6
; COMPUTE_PGM_RSRC2:TRAP_HANDLER: 0
; COMPUTE_PGM_RSRC2:TGID_X_EN: 1
; COMPUTE_PGM_RSRC2:TGID_Y_EN: 0
; COMPUTE_PGM_RSRC2:TGID_Z_EN: 0
; COMPUTE_PGM_RSRC2:TIDIG_COMP_CNT: 0
	.section	.text._ZN9rocsparseL36csrmmnn_nnz_split_compute_row_limitsILj256ELj256EliEEvT2_T1_S2_PKS2_PS1_21rocsparse_index_base_,"axG",@progbits,_ZN9rocsparseL36csrmmnn_nnz_split_compute_row_limitsILj256ELj256EliEEvT2_T1_S2_PKS2_PS1_21rocsparse_index_base_,comdat
	.globl	_ZN9rocsparseL36csrmmnn_nnz_split_compute_row_limitsILj256ELj256EliEEvT2_T1_S2_PKS2_PS1_21rocsparse_index_base_ ; -- Begin function _ZN9rocsparseL36csrmmnn_nnz_split_compute_row_limitsILj256ELj256EliEEvT2_T1_S2_PKS2_PS1_21rocsparse_index_base_
	.p2align	8
	.type	_ZN9rocsparseL36csrmmnn_nnz_split_compute_row_limitsILj256ELj256EliEEvT2_T1_S2_PKS2_PS1_21rocsparse_index_base_,@function
_ZN9rocsparseL36csrmmnn_nnz_split_compute_row_limitsILj256ELj256EliEEvT2_T1_S2_PKS2_PS1_21rocsparse_index_base_: ; @_ZN9rocsparseL36csrmmnn_nnz_split_compute_row_limitsILj256ELj256EliEEvT2_T1_S2_PKS2_PS1_21rocsparse_index_base_
; %bb.0:
	s_load_dwordx2 s[12:13], s[4:5], 0x8
	v_mov_b32_e32 v2, 0
	v_lshl_or_b32 v0, s6, 8, v0
	v_mov_b32_e32 v1, v2
	s_waitcnt lgkmcnt(0)
	v_cmp_gt_i64_e32 vcc, s[12:13], v[0:1]
	s_and_saveexec_b64 s[0:1], vcc
	s_cbranch_execz .LBB1_7
; %bb.1:
	s_load_dwordx4 s[8:11], s[4:5], 0x18
	s_load_dword s2, s[4:5], 0x28
	s_load_dword s14, s[4:5], 0x0
	v_lshlrev_b64 v[4:5], 8, v[0:1]
	s_waitcnt lgkmcnt(0)
	s_load_dwordx2 s[0:1], s[8:9], 0x0
	v_add_co_u32_e32 v4, vcc, s2, v4
	v_addc_co_u32_e32 v5, vcc, 0, v5, vcc
	s_waitcnt lgkmcnt(0)
	v_cmp_lt_i64_e32 vcc, s[0:1], v[4:5]
	s_cmp_gt_i32 s14, 1
	s_cselect_b64 s[0:1], -1, 0
	s_and_b64 s[0:1], vcc, s[0:1]
	s_and_saveexec_b64 s[4:5], s[0:1]
	s_cbranch_execz .LBB1_5
; %bb.2:
	s_lshr_b32 s0, s14, 1
	v_mov_b32_e32 v7, 0
	s_mov_b64 s[6:7], 0
	v_mov_b32_e32 v6, s0
	v_mov_b32_e32 v8, s14
	;; [unrolled: 1-line block ×4, first 2 shown]
.LBB1_3:                                ; =>This Inner Loop Header: Depth=1
	v_lshlrev_b64 v[10:11], 3, v[6:7]
	v_mov_b32_e32 v3, v7
	v_add_co_u32_e32 v10, vcc, s8, v10
	v_addc_co_u32_e32 v11, vcc, v9, v11, vcc
	global_load_dwordx2 v[10:11], v[10:11], off
	s_waitcnt vmcnt(0)
	v_cmp_gt_i64_e32 vcc, v[10:11], v[4:5]
	v_cndmask_b32_e32 v2, v6, v2, vcc
	v_lshlrev_b64 v[10:11], 3, v[2:3]
	v_cndmask_b32_e32 v8, v8, v6, vcc
	v_add_co_u32_e64 v10, s[0:1], s8, v10
	v_addc_co_u32_e64 v11, s[0:1], v9, v11, s[0:1]
	global_load_dwordx2 v[10:11], v[10:11], off
	v_add_u32_e32 v3, v2, v8
	v_lshrrev_b32_e32 v6, 1, v3
	v_cmp_ge_i32_e32 vcc, v2, v6
	v_cmp_le_i32_e64 s[2:3], v8, v6
	s_waitcnt vmcnt(0)
	v_cmp_ge_i64_e64 s[0:1], v[10:11], v[4:5]
	s_or_b64 s[0:1], s[0:1], vcc
	s_or_b64 s[0:1], s[0:1], s[2:3]
	s_and_b64 s[0:1], exec, s[0:1]
	s_or_b64 s[6:7], s[0:1], s[6:7]
	s_andn2_b64 exec, exec, s[6:7]
	s_cbranch_execnz .LBB1_3
; %bb.4:
	s_or_b64 exec, exec, s[6:7]
.LBB1_5:
	s_or_b64 exec, exec, s[4:5]
	v_lshlrev_b64 v[3:4], 2, v[0:1]
	v_mov_b32_e32 v5, s11
	v_add_co_u32_e32 v3, vcc, s10, v3
	s_add_u32 s0, s12, -1
	v_addc_co_u32_e32 v4, vcc, v5, v4, vcc
	s_addc_u32 s1, s13, -1
	v_cmp_eq_u64_e32 vcc, s[0:1], v[0:1]
	global_store_dword v[3:4], v2, off
	s_and_b64 exec, exec, vcc
	s_cbranch_execz .LBB1_7
; %bb.6:
	v_mov_b32_e32 v0, s14
	global_store_dword v[3:4], v0, off offset:4
.LBB1_7:
	s_endpgm
	.section	.rodata,"a",@progbits
	.p2align	6, 0x0
	.amdhsa_kernel _ZN9rocsparseL36csrmmnn_nnz_split_compute_row_limitsILj256ELj256EliEEvT2_T1_S2_PKS2_PS1_21rocsparse_index_base_
		.amdhsa_group_segment_fixed_size 0
		.amdhsa_private_segment_fixed_size 0
		.amdhsa_kernarg_size 44
		.amdhsa_user_sgpr_count 6
		.amdhsa_user_sgpr_private_segment_buffer 1
		.amdhsa_user_sgpr_dispatch_ptr 0
		.amdhsa_user_sgpr_queue_ptr 0
		.amdhsa_user_sgpr_kernarg_segment_ptr 1
		.amdhsa_user_sgpr_dispatch_id 0
		.amdhsa_user_sgpr_flat_scratch_init 0
		.amdhsa_user_sgpr_private_segment_size 0
		.amdhsa_uses_dynamic_stack 0
		.amdhsa_system_sgpr_private_segment_wavefront_offset 0
		.amdhsa_system_sgpr_workgroup_id_x 1
		.amdhsa_system_sgpr_workgroup_id_y 0
		.amdhsa_system_sgpr_workgroup_id_z 0
		.amdhsa_system_sgpr_workgroup_info 0
		.amdhsa_system_vgpr_workitem_id 0
		.amdhsa_next_free_vgpr 12
		.amdhsa_next_free_sgpr 15
		.amdhsa_reserve_vcc 1
		.amdhsa_reserve_flat_scratch 0
		.amdhsa_float_round_mode_32 0
		.amdhsa_float_round_mode_16_64 0
		.amdhsa_float_denorm_mode_32 3
		.amdhsa_float_denorm_mode_16_64 3
		.amdhsa_dx10_clamp 1
		.amdhsa_ieee_mode 1
		.amdhsa_fp16_overflow 0
		.amdhsa_exception_fp_ieee_invalid_op 0
		.amdhsa_exception_fp_denorm_src 0
		.amdhsa_exception_fp_ieee_div_zero 0
		.amdhsa_exception_fp_ieee_overflow 0
		.amdhsa_exception_fp_ieee_underflow 0
		.amdhsa_exception_fp_ieee_inexact 0
		.amdhsa_exception_int_div_zero 0
	.end_amdhsa_kernel
	.section	.text._ZN9rocsparseL36csrmmnn_nnz_split_compute_row_limitsILj256ELj256EliEEvT2_T1_S2_PKS2_PS1_21rocsparse_index_base_,"axG",@progbits,_ZN9rocsparseL36csrmmnn_nnz_split_compute_row_limitsILj256ELj256EliEEvT2_T1_S2_PKS2_PS1_21rocsparse_index_base_,comdat
.Lfunc_end1:
	.size	_ZN9rocsparseL36csrmmnn_nnz_split_compute_row_limitsILj256ELj256EliEEvT2_T1_S2_PKS2_PS1_21rocsparse_index_base_, .Lfunc_end1-_ZN9rocsparseL36csrmmnn_nnz_split_compute_row_limitsILj256ELj256EliEEvT2_T1_S2_PKS2_PS1_21rocsparse_index_base_
                                        ; -- End function
	.set _ZN9rocsparseL36csrmmnn_nnz_split_compute_row_limitsILj256ELj256EliEEvT2_T1_S2_PKS2_PS1_21rocsparse_index_base_.num_vgpr, 12
	.set _ZN9rocsparseL36csrmmnn_nnz_split_compute_row_limitsILj256ELj256EliEEvT2_T1_S2_PKS2_PS1_21rocsparse_index_base_.num_agpr, 0
	.set _ZN9rocsparseL36csrmmnn_nnz_split_compute_row_limitsILj256ELj256EliEEvT2_T1_S2_PKS2_PS1_21rocsparse_index_base_.numbered_sgpr, 15
	.set _ZN9rocsparseL36csrmmnn_nnz_split_compute_row_limitsILj256ELj256EliEEvT2_T1_S2_PKS2_PS1_21rocsparse_index_base_.num_named_barrier, 0
	.set _ZN9rocsparseL36csrmmnn_nnz_split_compute_row_limitsILj256ELj256EliEEvT2_T1_S2_PKS2_PS1_21rocsparse_index_base_.private_seg_size, 0
	.set _ZN9rocsparseL36csrmmnn_nnz_split_compute_row_limitsILj256ELj256EliEEvT2_T1_S2_PKS2_PS1_21rocsparse_index_base_.uses_vcc, 1
	.set _ZN9rocsparseL36csrmmnn_nnz_split_compute_row_limitsILj256ELj256EliEEvT2_T1_S2_PKS2_PS1_21rocsparse_index_base_.uses_flat_scratch, 0
	.set _ZN9rocsparseL36csrmmnn_nnz_split_compute_row_limitsILj256ELj256EliEEvT2_T1_S2_PKS2_PS1_21rocsparse_index_base_.has_dyn_sized_stack, 0
	.set _ZN9rocsparseL36csrmmnn_nnz_split_compute_row_limitsILj256ELj256EliEEvT2_T1_S2_PKS2_PS1_21rocsparse_index_base_.has_recursion, 0
	.set _ZN9rocsparseL36csrmmnn_nnz_split_compute_row_limitsILj256ELj256EliEEvT2_T1_S2_PKS2_PS1_21rocsparse_index_base_.has_indirect_call, 0
	.section	.AMDGPU.csdata,"",@progbits
; Kernel info:
; codeLenInByte = 352
; TotalNumSgprs: 19
; NumVgprs: 12
; ScratchSize: 0
; MemoryBound: 0
; FloatMode: 240
; IeeeMode: 1
; LDSByteSize: 0 bytes/workgroup (compile time only)
; SGPRBlocks: 2
; VGPRBlocks: 2
; NumSGPRsForWavesPerEU: 19
; NumVGPRsForWavesPerEU: 12
; Occupancy: 10
; WaveLimiterHint : 0
; COMPUTE_PGM_RSRC2:SCRATCH_EN: 0
; COMPUTE_PGM_RSRC2:USER_SGPR: 6
; COMPUTE_PGM_RSRC2:TRAP_HANDLER: 0
; COMPUTE_PGM_RSRC2:TGID_X_EN: 1
; COMPUTE_PGM_RSRC2:TGID_Y_EN: 0
; COMPUTE_PGM_RSRC2:TGID_Z_EN: 0
; COMPUTE_PGM_RSRC2:TIDIG_COMP_CNT: 0
	.section	.text._ZN9rocsparseL36csrmmnn_nnz_split_compute_row_limitsILj256ELj256EllEEvT2_T1_S2_PKS2_PS1_21rocsparse_index_base_,"axG",@progbits,_ZN9rocsparseL36csrmmnn_nnz_split_compute_row_limitsILj256ELj256EllEEvT2_T1_S2_PKS2_PS1_21rocsparse_index_base_,comdat
	.globl	_ZN9rocsparseL36csrmmnn_nnz_split_compute_row_limitsILj256ELj256EllEEvT2_T1_S2_PKS2_PS1_21rocsparse_index_base_ ; -- Begin function _ZN9rocsparseL36csrmmnn_nnz_split_compute_row_limitsILj256ELj256EllEEvT2_T1_S2_PKS2_PS1_21rocsparse_index_base_
	.p2align	8
	.type	_ZN9rocsparseL36csrmmnn_nnz_split_compute_row_limitsILj256ELj256EllEEvT2_T1_S2_PKS2_PS1_21rocsparse_index_base_,@function
_ZN9rocsparseL36csrmmnn_nnz_split_compute_row_limitsILj256ELj256EllEEvT2_T1_S2_PKS2_PS1_21rocsparse_index_base_: ; @_ZN9rocsparseL36csrmmnn_nnz_split_compute_row_limitsILj256ELj256EllEEvT2_T1_S2_PKS2_PS1_21rocsparse_index_base_
; %bb.0:
	s_load_dwordx4 s[8:11], s[4:5], 0x0
	v_lshl_or_b32 v0, s6, 8, v0
	v_mov_b32_e32 v1, 0
	s_waitcnt lgkmcnt(0)
	v_cmp_gt_i64_e32 vcc, s[10:11], v[0:1]
	s_and_saveexec_b64 s[0:1], vcc
	s_cbranch_execz .LBB2_7
; %bb.1:
	s_load_dwordx4 s[12:15], s[4:5], 0x18
	s_load_dword s2, s[4:5], 0x28
	v_lshlrev_b64 v[2:3], 8, v[0:1]
	s_waitcnt lgkmcnt(0)
	s_load_dwordx2 s[0:1], s[12:13], 0x0
	v_add_co_u32_e32 v4, vcc, s2, v2
	v_addc_co_u32_e32 v5, vcc, 0, v3, vcc
	s_waitcnt lgkmcnt(0)
	v_cmp_lt_i64_e32 vcc, s[0:1], v[4:5]
	v_cmp_gt_i64_e64 s[0:1], s[8:9], 1
	v_mov_b32_e32 v2, 0
	v_mov_b32_e32 v3, 0
	s_and_b64 s[0:1], vcc, s[0:1]
	s_and_saveexec_b64 s[4:5], s[0:1]
	s_cbranch_execz .LBB2_5
; %bb.2:
	s_lshr_b64 s[0:1], s[8:9], 1
	v_mov_b32_e32 v9, s1
	v_mov_b32_e32 v6, s8
	;; [unrolled: 1-line block ×3, first 2 shown]
	s_mov_b64 s[6:7], 0
	v_mov_b32_e32 v8, s0
	v_mov_b32_e32 v7, s9
	;; [unrolled: 1-line block ×4, first 2 shown]
.LBB2_3:                                ; =>This Inner Loop Header: Depth=1
	v_lshlrev_b64 v[11:12], 3, v[8:9]
	v_add_co_u32_e32 v11, vcc, s12, v11
	v_addc_co_u32_e32 v12, vcc, v10, v12, vcc
	global_load_dwordx2 v[11:12], v[11:12], off
	s_waitcnt vmcnt(0)
	v_cmp_gt_i64_e32 vcc, v[11:12], v[4:5]
	v_cndmask_b32_e32 v3, v9, v3, vcc
	v_cndmask_b32_e32 v2, v8, v2, vcc
	v_lshlrev_b64 v[11:12], 3, v[2:3]
	v_cndmask_b32_e32 v6, v6, v8, vcc
	v_add_co_u32_e64 v11, s[0:1], s12, v11
	v_addc_co_u32_e64 v12, s[0:1], v10, v12, s[0:1]
	global_load_dwordx2 v[11:12], v[11:12], off
	v_cndmask_b32_e32 v7, v7, v9, vcc
	v_add_co_u32_e32 v8, vcc, v2, v6
	v_addc_co_u32_e32 v9, vcc, v3, v7, vcc
	v_lshrrev_b64 v[8:9], 1, v[8:9]
	v_cmp_ge_i64_e32 vcc, v[2:3], v[8:9]
	v_cmp_le_i64_e64 s[2:3], v[6:7], v[8:9]
	s_waitcnt vmcnt(0)
	v_cmp_ge_i64_e64 s[0:1], v[11:12], v[4:5]
	s_or_b64 s[0:1], s[0:1], vcc
	s_or_b64 s[0:1], s[0:1], s[2:3]
	s_and_b64 s[0:1], exec, s[0:1]
	s_or_b64 s[6:7], s[0:1], s[6:7]
	s_andn2_b64 exec, exec, s[6:7]
	s_cbranch_execnz .LBB2_3
; %bb.4:
	s_or_b64 exec, exec, s[6:7]
.LBB2_5:
	s_or_b64 exec, exec, s[4:5]
	v_lshlrev_b64 v[4:5], 3, v[0:1]
	v_mov_b32_e32 v6, s15
	v_add_co_u32_e32 v4, vcc, s14, v4
	s_add_u32 s0, s10, -1
	v_addc_co_u32_e32 v5, vcc, v6, v5, vcc
	s_addc_u32 s1, s11, -1
	v_cmp_eq_u64_e32 vcc, s[0:1], v[0:1]
	global_store_dwordx2 v[4:5], v[2:3], off
	s_and_b64 exec, exec, vcc
	s_cbranch_execz .LBB2_7
; %bb.6:
	v_mov_b32_e32 v0, s8
	v_mov_b32_e32 v1, s9
	global_store_dwordx2 v[4:5], v[0:1], off offset:8
.LBB2_7:
	s_endpgm
	.section	.rodata,"a",@progbits
	.p2align	6, 0x0
	.amdhsa_kernel _ZN9rocsparseL36csrmmnn_nnz_split_compute_row_limitsILj256ELj256EllEEvT2_T1_S2_PKS2_PS1_21rocsparse_index_base_
		.amdhsa_group_segment_fixed_size 0
		.amdhsa_private_segment_fixed_size 0
		.amdhsa_kernarg_size 44
		.amdhsa_user_sgpr_count 6
		.amdhsa_user_sgpr_private_segment_buffer 1
		.amdhsa_user_sgpr_dispatch_ptr 0
		.amdhsa_user_sgpr_queue_ptr 0
		.amdhsa_user_sgpr_kernarg_segment_ptr 1
		.amdhsa_user_sgpr_dispatch_id 0
		.amdhsa_user_sgpr_flat_scratch_init 0
		.amdhsa_user_sgpr_private_segment_size 0
		.amdhsa_uses_dynamic_stack 0
		.amdhsa_system_sgpr_private_segment_wavefront_offset 0
		.amdhsa_system_sgpr_workgroup_id_x 1
		.amdhsa_system_sgpr_workgroup_id_y 0
		.amdhsa_system_sgpr_workgroup_id_z 0
		.amdhsa_system_sgpr_workgroup_info 0
		.amdhsa_system_vgpr_workitem_id 0
		.amdhsa_next_free_vgpr 13
		.amdhsa_next_free_sgpr 16
		.amdhsa_reserve_vcc 1
		.amdhsa_reserve_flat_scratch 0
		.amdhsa_float_round_mode_32 0
		.amdhsa_float_round_mode_16_64 0
		.amdhsa_float_denorm_mode_32 3
		.amdhsa_float_denorm_mode_16_64 3
		.amdhsa_dx10_clamp 1
		.amdhsa_ieee_mode 1
		.amdhsa_fp16_overflow 0
		.amdhsa_exception_fp_ieee_invalid_op 0
		.amdhsa_exception_fp_denorm_src 0
		.amdhsa_exception_fp_ieee_div_zero 0
		.amdhsa_exception_fp_ieee_overflow 0
		.amdhsa_exception_fp_ieee_underflow 0
		.amdhsa_exception_fp_ieee_inexact 0
		.amdhsa_exception_int_div_zero 0
	.end_amdhsa_kernel
	.section	.text._ZN9rocsparseL36csrmmnn_nnz_split_compute_row_limitsILj256ELj256EllEEvT2_T1_S2_PKS2_PS1_21rocsparse_index_base_,"axG",@progbits,_ZN9rocsparseL36csrmmnn_nnz_split_compute_row_limitsILj256ELj256EllEEvT2_T1_S2_PKS2_PS1_21rocsparse_index_base_,comdat
.Lfunc_end2:
	.size	_ZN9rocsparseL36csrmmnn_nnz_split_compute_row_limitsILj256ELj256EllEEvT2_T1_S2_PKS2_PS1_21rocsparse_index_base_, .Lfunc_end2-_ZN9rocsparseL36csrmmnn_nnz_split_compute_row_limitsILj256ELj256EllEEvT2_T1_S2_PKS2_PS1_21rocsparse_index_base_
                                        ; -- End function
	.set _ZN9rocsparseL36csrmmnn_nnz_split_compute_row_limitsILj256ELj256EllEEvT2_T1_S2_PKS2_PS1_21rocsparse_index_base_.num_vgpr, 13
	.set _ZN9rocsparseL36csrmmnn_nnz_split_compute_row_limitsILj256ELj256EllEEvT2_T1_S2_PKS2_PS1_21rocsparse_index_base_.num_agpr, 0
	.set _ZN9rocsparseL36csrmmnn_nnz_split_compute_row_limitsILj256ELj256EllEEvT2_T1_S2_PKS2_PS1_21rocsparse_index_base_.numbered_sgpr, 16
	.set _ZN9rocsparseL36csrmmnn_nnz_split_compute_row_limitsILj256ELj256EllEEvT2_T1_S2_PKS2_PS1_21rocsparse_index_base_.num_named_barrier, 0
	.set _ZN9rocsparseL36csrmmnn_nnz_split_compute_row_limitsILj256ELj256EllEEvT2_T1_S2_PKS2_PS1_21rocsparse_index_base_.private_seg_size, 0
	.set _ZN9rocsparseL36csrmmnn_nnz_split_compute_row_limitsILj256ELj256EllEEvT2_T1_S2_PKS2_PS1_21rocsparse_index_base_.uses_vcc, 1
	.set _ZN9rocsparseL36csrmmnn_nnz_split_compute_row_limitsILj256ELj256EllEEvT2_T1_S2_PKS2_PS1_21rocsparse_index_base_.uses_flat_scratch, 0
	.set _ZN9rocsparseL36csrmmnn_nnz_split_compute_row_limitsILj256ELj256EllEEvT2_T1_S2_PKS2_PS1_21rocsparse_index_base_.has_dyn_sized_stack, 0
	.set _ZN9rocsparseL36csrmmnn_nnz_split_compute_row_limitsILj256ELj256EllEEvT2_T1_S2_PKS2_PS1_21rocsparse_index_base_.has_recursion, 0
	.set _ZN9rocsparseL36csrmmnn_nnz_split_compute_row_limitsILj256ELj256EllEEvT2_T1_S2_PKS2_PS1_21rocsparse_index_base_.has_indirect_call, 0
	.section	.AMDGPU.csdata,"",@progbits
; Kernel info:
; codeLenInByte = 372
; TotalNumSgprs: 20
; NumVgprs: 13
; ScratchSize: 0
; MemoryBound: 0
; FloatMode: 240
; IeeeMode: 1
; LDSByteSize: 0 bytes/workgroup (compile time only)
; SGPRBlocks: 2
; VGPRBlocks: 3
; NumSGPRsForWavesPerEU: 20
; NumVGPRsForWavesPerEU: 13
; Occupancy: 10
; WaveLimiterHint : 0
; COMPUTE_PGM_RSRC2:SCRATCH_EN: 0
; COMPUTE_PGM_RSRC2:USER_SGPR: 6
; COMPUTE_PGM_RSRC2:TRAP_HANDLER: 0
; COMPUTE_PGM_RSRC2:TGID_X_EN: 1
; COMPUTE_PGM_RSRC2:TGID_Y_EN: 0
; COMPUTE_PGM_RSRC2:TGID_Z_EN: 0
; COMPUTE_PGM_RSRC2:TIDIG_COMP_CNT: 0
	.section	.text._ZN9rocsparseL28csrmmnn_general_block_reduceILj1024EiiffEEvT0_PKT1_PKT3_PT2_l16rocsparse_order_,"axG",@progbits,_ZN9rocsparseL28csrmmnn_general_block_reduceILj1024EiiffEEvT0_PKT1_PKT3_PT2_l16rocsparse_order_,comdat
	.globl	_ZN9rocsparseL28csrmmnn_general_block_reduceILj1024EiiffEEvT0_PKT1_PKT3_PT2_l16rocsparse_order_ ; -- Begin function _ZN9rocsparseL28csrmmnn_general_block_reduceILj1024EiiffEEvT0_PKT1_PKT3_PT2_l16rocsparse_order_
	.p2align	8
	.type	_ZN9rocsparseL28csrmmnn_general_block_reduceILj1024EiiffEEvT0_PKT1_PKT3_PT2_l16rocsparse_order_,@function
_ZN9rocsparseL28csrmmnn_general_block_reduceILj1024EiiffEEvT0_PKT1_PKT3_PT2_l16rocsparse_order_: ; @_ZN9rocsparseL28csrmmnn_general_block_reduceILj1024EiiffEEvT0_PKT1_PKT3_PT2_l16rocsparse_order_
; %bb.0:
	s_load_dword s33, s[4:5], 0x0
	v_lshlrev_b32_e32 v3, 2, v0
	v_mov_b32_e32 v1, -1
	v_mov_b32_e32 v2, 0
	ds_write2st64_b32 v3, v1, v2 offset1:16
	s_waitcnt lgkmcnt(0)
	v_cmp_gt_i32_e32 vcc, s33, v0
	s_barrier
	s_and_saveexec_b64 s[0:1], vcc
	s_cbranch_execz .LBB3_50
; %bb.1:
	s_load_dword s7, s[4:5], 0x28
	s_load_dwordx8 s[24:31], s[4:5], 0x8
	s_mul_i32 s38, s33, s6
	v_or_b32_e32 v4, 0x1000, v3
	s_movk_i32 s14, 0x7f
	s_waitcnt lgkmcnt(0)
	s_cmp_lg_u32 s7, 1
	s_cselect_b64 s[34:35], -1, 0
	s_ashr_i32 s7, s6, 31
	s_lshl_b64 s[36:37], s[6:7], 2
	s_add_u32 s39, s28, s36
	s_mul_hi_u32 s36, s30, s6
	s_mul_i32 s7, s30, s7
	s_addc_u32 s40, s29, s37
	s_add_i32 s7, s36, s7
	s_mul_i32 s36, s31, s6
	s_add_i32 s7, s7, s36
	s_mul_i32 s6, s30, s6
	s_lshl_b64 s[6:7], s[6:7], 2
	s_movk_i32 s16, 0xff
	s_movk_i32 s18, 0x1ff
	;; [unrolled: 1-line block ×3, first 2 shown]
	s_add_u32 s41, s28, s6
	v_cmp_ne_u32_e64 s[0:1], 0, v0
	v_add_u32_e32 v5, -4, v3
	v_add_u32_e32 v6, -4, v4
	v_cmp_lt_u32_e64 s[2:3], 1, v0
	v_add_u32_e32 v7, -8, v3
	v_add_u32_e32 v8, -8, v4
	v_cmp_lt_u32_e64 s[4:5], 3, v0
	;; [unrolled: 3-line block ×3, first 2 shown]
	v_subrev_u32_e32 v11, 32, v3
	v_subrev_u32_e32 v12, 32, v4
	v_cmp_lt_u32_e64 s[8:9], 15, v0
	v_subrev_u32_e32 v13, 64, v3
	v_subrev_u32_e32 v14, 64, v4
	v_cmp_lt_u32_e64 s[10:11], 31, v0
	v_add_u32_e32 v15, 0xffffff80, v3
	v_add_u32_e32 v16, 0xffffff80, v4
	v_cmp_lt_u32_e64 s[12:13], 63, v0
	v_add_u32_e32 v17, 0xffffff00, v3
	v_add_u32_e32 v18, 0xffffff00, v4
	;; [unrolled: 3-line block ×5, first 2 shown]
	v_cmp_ne_u32_e64 s[20:21], s20, v0
	s_addc_u32 s42, s29, s7
	s_mov_b64 s[28:29], 0
	v_mov_b32_e32 v25, s25
	v_mov_b32_e32 v26, s27
	s_branch .LBB3_3
.LBB3_2:                                ;   in Loop: Header=BB3_3 Depth=1
	s_or_b64 exec, exec, s[6:7]
	v_add_u32_e32 v0, 0x400, v0
	v_cmp_le_i32_e32 vcc, s33, v0
	s_or_b64 s[28:29], vcc, s[28:29]
	s_waitcnt vmcnt(0)
	s_barrier
	s_andn2_b64 exec, exec, s[28:29]
	s_cbranch_execz .LBB3_50
.LBB3_3:                                ; =>This Inner Loop Header: Depth=1
	v_ashrrev_i32_e32 v1, 31, v0
	v_lshlrev_b64 v[27:28], 2, v[0:1]
	v_mov_b32_e32 v1, 0
	v_add_co_u32_e32 v27, vcc, s24, v27
	v_addc_co_u32_e32 v28, vcc, v25, v28, vcc
	global_load_dword v29, v[27:28], off
	v_add_u32_e32 v27, s38, v0
	v_ashrrev_i32_e32 v28, 31, v27
	v_lshlrev_b64 v[27:28], 2, v[27:28]
	v_add_co_u32_e32 v27, vcc, s26, v27
	v_addc_co_u32_e32 v28, vcc, v26, v28, vcc
	global_load_dword v27, v[27:28], off
	s_waitcnt vmcnt(1)
	ds_write_b32 v3, v29
	s_waitcnt vmcnt(0)
	ds_write_b32 v4, v27
	v_mov_b32_e32 v27, 0
	s_waitcnt lgkmcnt(0)
	s_barrier
	s_and_saveexec_b64 s[6:7], s[0:1]
	s_cbranch_execz .LBB3_7
; %bb.4:                                ;   in Loop: Header=BB3_3 Depth=1
	ds_read2_b32 v[27:28], v5 offset1:1
	s_waitcnt lgkmcnt(0)
	v_cmp_eq_u32_e32 vcc, v28, v27
	v_mov_b32_e32 v27, 0
	s_and_saveexec_b64 s[36:37], vcc
; %bb.5:                                ;   in Loop: Header=BB3_3 Depth=1
	ds_read_b32 v27, v6
; %bb.6:                                ;   in Loop: Header=BB3_3 Depth=1
	s_or_b64 exec, exec, s[36:37]
.LBB3_7:                                ;   in Loop: Header=BB3_3 Depth=1
	s_or_b64 exec, exec, s[6:7]
	s_waitcnt lgkmcnt(0)
	s_barrier
	ds_read_b32 v28, v4
	s_waitcnt lgkmcnt(0)
	v_add_f32_e32 v27, v27, v28
	ds_write_b32 v4, v27
	s_waitcnt lgkmcnt(0)
	s_barrier
	s_and_saveexec_b64 s[6:7], s[2:3]
	s_cbranch_execz .LBB3_11
; %bb.8:                                ;   in Loop: Header=BB3_3 Depth=1
	ds_read_b32 v1, v3
	ds_read_b32 v27, v7
	s_waitcnt lgkmcnt(0)
	v_cmp_eq_u32_e32 vcc, v1, v27
	v_mov_b32_e32 v1, 0
	s_and_saveexec_b64 s[36:37], vcc
; %bb.9:                                ;   in Loop: Header=BB3_3 Depth=1
	ds_read_b32 v1, v8
; %bb.10:                               ;   in Loop: Header=BB3_3 Depth=1
	s_or_b64 exec, exec, s[36:37]
.LBB3_11:                               ;   in Loop: Header=BB3_3 Depth=1
	s_or_b64 exec, exec, s[6:7]
	s_waitcnt lgkmcnt(0)
	s_barrier
	ds_read_b32 v27, v4
	s_waitcnt lgkmcnt(0)
	v_add_f32_e32 v1, v1, v27
	ds_write_b32 v4, v1
	v_mov_b32_e32 v1, 0
	v_mov_b32_e32 v27, 0
	s_waitcnt lgkmcnt(0)
	s_barrier
	s_and_saveexec_b64 s[6:7], s[4:5]
	s_cbranch_execz .LBB3_15
; %bb.12:                               ;   in Loop: Header=BB3_3 Depth=1
	ds_read_b32 v27, v3
	ds_read_b32 v28, v9
	s_waitcnt lgkmcnt(0)
	v_cmp_eq_u32_e32 vcc, v27, v28
	v_mov_b32_e32 v27, 0
	s_and_saveexec_b64 s[36:37], vcc
; %bb.13:                               ;   in Loop: Header=BB3_3 Depth=1
	ds_read_b32 v27, v10
; %bb.14:                               ;   in Loop: Header=BB3_3 Depth=1
	s_or_b64 exec, exec, s[36:37]
.LBB3_15:                               ;   in Loop: Header=BB3_3 Depth=1
	s_or_b64 exec, exec, s[6:7]
	s_waitcnt lgkmcnt(0)
	s_barrier
	ds_read_b32 v28, v4
	s_waitcnt lgkmcnt(0)
	v_add_f32_e32 v27, v27, v28
	ds_write_b32 v4, v27
	s_waitcnt lgkmcnt(0)
	s_barrier
	s_and_saveexec_b64 s[6:7], s[22:23]
	s_cbranch_execz .LBB3_19
; %bb.16:                               ;   in Loop: Header=BB3_3 Depth=1
	ds_read_b32 v1, v3
	ds_read_b32 v27, v11
	s_waitcnt lgkmcnt(0)
	v_cmp_eq_u32_e32 vcc, v1, v27
	v_mov_b32_e32 v1, 0
	s_and_saveexec_b64 s[36:37], vcc
; %bb.17:                               ;   in Loop: Header=BB3_3 Depth=1
	ds_read_b32 v1, v12
; %bb.18:                               ;   in Loop: Header=BB3_3 Depth=1
	s_or_b64 exec, exec, s[36:37]
.LBB3_19:                               ;   in Loop: Header=BB3_3 Depth=1
	s_or_b64 exec, exec, s[6:7]
	s_waitcnt lgkmcnt(0)
	s_barrier
	ds_read_b32 v27, v4
	s_waitcnt lgkmcnt(0)
	v_add_f32_e32 v1, v1, v27
	ds_write_b32 v4, v1
	v_mov_b32_e32 v1, 0
	v_mov_b32_e32 v27, 0
	s_waitcnt lgkmcnt(0)
	s_barrier
	s_and_saveexec_b64 s[6:7], s[8:9]
	s_cbranch_execz .LBB3_23
; %bb.20:                               ;   in Loop: Header=BB3_3 Depth=1
	ds_read_b32 v27, v3
	ds_read_b32 v28, v13
	s_waitcnt lgkmcnt(0)
	v_cmp_eq_u32_e32 vcc, v27, v28
	v_mov_b32_e32 v27, 0
	s_and_saveexec_b64 s[36:37], vcc
; %bb.21:                               ;   in Loop: Header=BB3_3 Depth=1
	ds_read_b32 v27, v14
; %bb.22:                               ;   in Loop: Header=BB3_3 Depth=1
	s_or_b64 exec, exec, s[36:37]
.LBB3_23:                               ;   in Loop: Header=BB3_3 Depth=1
	s_or_b64 exec, exec, s[6:7]
	s_waitcnt lgkmcnt(0)
	s_barrier
	ds_read_b32 v28, v4
	s_waitcnt lgkmcnt(0)
	v_add_f32_e32 v27, v27, v28
	ds_write_b32 v4, v27
	s_waitcnt lgkmcnt(0)
	s_barrier
	s_and_saveexec_b64 s[6:7], s[10:11]
	s_cbranch_execz .LBB3_27
; %bb.24:                               ;   in Loop: Header=BB3_3 Depth=1
	ds_read_b32 v1, v3
	ds_read_b32 v27, v15
	s_waitcnt lgkmcnt(0)
	v_cmp_eq_u32_e32 vcc, v1, v27
	v_mov_b32_e32 v1, 0
	s_and_saveexec_b64 s[36:37], vcc
; %bb.25:                               ;   in Loop: Header=BB3_3 Depth=1
	ds_read_b32 v1, v16
; %bb.26:                               ;   in Loop: Header=BB3_3 Depth=1
	s_or_b64 exec, exec, s[36:37]
.LBB3_27:                               ;   in Loop: Header=BB3_3 Depth=1
	;; [unrolled: 48-line block ×4, first 2 shown]
	s_or_b64 exec, exec, s[6:7]
	s_waitcnt lgkmcnt(0)
	s_barrier
	ds_read_b32 v27, v4
	s_waitcnt lgkmcnt(0)
	v_add_f32_e32 v1, v1, v27
	ds_write_b32 v4, v1
	s_waitcnt lgkmcnt(0)
	s_barrier
	ds_read_b32 v1, v3
	v_mov_b32_e32 v27, -1
	s_and_saveexec_b64 s[6:7], s[20:21]
; %bb.44:                               ;   in Loop: Header=BB3_3 Depth=1
	ds_read_b32 v27, v3 offset:4
; %bb.45:                               ;   in Loop: Header=BB3_3 Depth=1
	s_or_b64 exec, exec, s[6:7]
	s_waitcnt lgkmcnt(0)
	v_cmp_ne_u32_e32 vcc, v1, v27
	v_cmp_lt_i32_e64 s[6:7], -1, v1
	s_and_b64 s[36:37], s[6:7], vcc
	s_and_saveexec_b64 s[6:7], s[36:37]
	s_cbranch_execz .LBB3_2
; %bb.46:                               ;   in Loop: Header=BB3_3 Depth=1
	s_mov_b64 s[36:37], -1
	s_and_b64 vcc, exec, s[34:35]
	s_cbranch_vccz .LBB3_48
; %bb.47:                               ;   in Loop: Header=BB3_3 Depth=1
	v_mad_u64_u32 v[27:28], s[36:37], s30, v1, 0
	ds_read_b32 v30, v4
	v_mad_u64_u32 v[28:29], s[36:37], s31, v1, v[28:29]
	v_mov_b32_e32 v29, s40
	s_mov_b64 s[36:37], 0
	v_lshlrev_b64 v[27:28], 2, v[27:28]
	v_add_co_u32_e32 v27, vcc, s39, v27
	v_addc_co_u32_e32 v28, vcc, v29, v28, vcc
	global_load_dword v29, v[27:28], off
	s_waitcnt vmcnt(0) lgkmcnt(0)
	v_add_f32_e32 v29, v29, v30
	global_store_dword v[27:28], v29, off
.LBB3_48:                               ;   in Loop: Header=BB3_3 Depth=1
	s_andn2_b64 vcc, exec, s[36:37]
	s_cbranch_vccnz .LBB3_2
; %bb.49:                               ;   in Loop: Header=BB3_3 Depth=1
	v_lshlrev_b64 v[27:28], 2, v[1:2]
	v_mov_b32_e32 v1, s42
	v_add_co_u32_e32 v27, vcc, s41, v27
	v_addc_co_u32_e32 v28, vcc, v1, v28, vcc
	global_load_dword v1, v[27:28], off
	ds_read_b32 v29, v4
	s_waitcnt vmcnt(0) lgkmcnt(0)
	v_add_f32_e32 v1, v1, v29
	global_store_dword v[27:28], v1, off
	s_branch .LBB3_2
.LBB3_50:
	s_endpgm
	.section	.rodata,"a",@progbits
	.p2align	6, 0x0
	.amdhsa_kernel _ZN9rocsparseL28csrmmnn_general_block_reduceILj1024EiiffEEvT0_PKT1_PKT3_PT2_l16rocsparse_order_
		.amdhsa_group_segment_fixed_size 8192
		.amdhsa_private_segment_fixed_size 0
		.amdhsa_kernarg_size 44
		.amdhsa_user_sgpr_count 6
		.amdhsa_user_sgpr_private_segment_buffer 1
		.amdhsa_user_sgpr_dispatch_ptr 0
		.amdhsa_user_sgpr_queue_ptr 0
		.amdhsa_user_sgpr_kernarg_segment_ptr 1
		.amdhsa_user_sgpr_dispatch_id 0
		.amdhsa_user_sgpr_flat_scratch_init 0
		.amdhsa_user_sgpr_private_segment_size 0
		.amdhsa_uses_dynamic_stack 0
		.amdhsa_system_sgpr_private_segment_wavefront_offset 0
		.amdhsa_system_sgpr_workgroup_id_x 1
		.amdhsa_system_sgpr_workgroup_id_y 0
		.amdhsa_system_sgpr_workgroup_id_z 0
		.amdhsa_system_sgpr_workgroup_info 0
		.amdhsa_system_vgpr_workitem_id 0
		.amdhsa_next_free_vgpr 31
		.amdhsa_next_free_sgpr 61
		.amdhsa_reserve_vcc 1
		.amdhsa_reserve_flat_scratch 0
		.amdhsa_float_round_mode_32 0
		.amdhsa_float_round_mode_16_64 0
		.amdhsa_float_denorm_mode_32 3
		.amdhsa_float_denorm_mode_16_64 3
		.amdhsa_dx10_clamp 1
		.amdhsa_ieee_mode 1
		.amdhsa_fp16_overflow 0
		.amdhsa_exception_fp_ieee_invalid_op 0
		.amdhsa_exception_fp_denorm_src 0
		.amdhsa_exception_fp_ieee_div_zero 0
		.amdhsa_exception_fp_ieee_overflow 0
		.amdhsa_exception_fp_ieee_underflow 0
		.amdhsa_exception_fp_ieee_inexact 0
		.amdhsa_exception_int_div_zero 0
	.end_amdhsa_kernel
	.section	.text._ZN9rocsparseL28csrmmnn_general_block_reduceILj1024EiiffEEvT0_PKT1_PKT3_PT2_l16rocsparse_order_,"axG",@progbits,_ZN9rocsparseL28csrmmnn_general_block_reduceILj1024EiiffEEvT0_PKT1_PKT3_PT2_l16rocsparse_order_,comdat
.Lfunc_end3:
	.size	_ZN9rocsparseL28csrmmnn_general_block_reduceILj1024EiiffEEvT0_PKT1_PKT3_PT2_l16rocsparse_order_, .Lfunc_end3-_ZN9rocsparseL28csrmmnn_general_block_reduceILj1024EiiffEEvT0_PKT1_PKT3_PT2_l16rocsparse_order_
                                        ; -- End function
	.set _ZN9rocsparseL28csrmmnn_general_block_reduceILj1024EiiffEEvT0_PKT1_PKT3_PT2_l16rocsparse_order_.num_vgpr, 31
	.set _ZN9rocsparseL28csrmmnn_general_block_reduceILj1024EiiffEEvT0_PKT1_PKT3_PT2_l16rocsparse_order_.num_agpr, 0
	.set _ZN9rocsparseL28csrmmnn_general_block_reduceILj1024EiiffEEvT0_PKT1_PKT3_PT2_l16rocsparse_order_.numbered_sgpr, 43
	.set _ZN9rocsparseL28csrmmnn_general_block_reduceILj1024EiiffEEvT0_PKT1_PKT3_PT2_l16rocsparse_order_.num_named_barrier, 0
	.set _ZN9rocsparseL28csrmmnn_general_block_reduceILj1024EiiffEEvT0_PKT1_PKT3_PT2_l16rocsparse_order_.private_seg_size, 0
	.set _ZN9rocsparseL28csrmmnn_general_block_reduceILj1024EiiffEEvT0_PKT1_PKT3_PT2_l16rocsparse_order_.uses_vcc, 1
	.set _ZN9rocsparseL28csrmmnn_general_block_reduceILj1024EiiffEEvT0_PKT1_PKT3_PT2_l16rocsparse_order_.uses_flat_scratch, 0
	.set _ZN9rocsparseL28csrmmnn_general_block_reduceILj1024EiiffEEvT0_PKT1_PKT3_PT2_l16rocsparse_order_.has_dyn_sized_stack, 0
	.set _ZN9rocsparseL28csrmmnn_general_block_reduceILj1024EiiffEEvT0_PKT1_PKT3_PT2_l16rocsparse_order_.has_recursion, 0
	.set _ZN9rocsparseL28csrmmnn_general_block_reduceILj1024EiiffEEvT0_PKT1_PKT3_PT2_l16rocsparse_order_.has_indirect_call, 0
	.section	.AMDGPU.csdata,"",@progbits
; Kernel info:
; codeLenInByte = 1708
; TotalNumSgprs: 47
; NumVgprs: 31
; ScratchSize: 0
; MemoryBound: 0
; FloatMode: 240
; IeeeMode: 1
; LDSByteSize: 8192 bytes/workgroup (compile time only)
; SGPRBlocks: 8
; VGPRBlocks: 7
; NumSGPRsForWavesPerEU: 65
; NumVGPRsForWavesPerEU: 31
; Occupancy: 8
; WaveLimiterHint : 0
; COMPUTE_PGM_RSRC2:SCRATCH_EN: 0
; COMPUTE_PGM_RSRC2:USER_SGPR: 6
; COMPUTE_PGM_RSRC2:TRAP_HANDLER: 0
; COMPUTE_PGM_RSRC2:TGID_X_EN: 1
; COMPUTE_PGM_RSRC2:TGID_Y_EN: 0
; COMPUTE_PGM_RSRC2:TGID_Z_EN: 0
; COMPUTE_PGM_RSRC2:TIDIG_COMP_CNT: 0
	.section	.text._ZN9rocsparseL28csrmmnn_general_block_reduceILj1024EliffEEvT0_PKT1_PKT3_PT2_l16rocsparse_order_,"axG",@progbits,_ZN9rocsparseL28csrmmnn_general_block_reduceILj1024EliffEEvT0_PKT1_PKT3_PT2_l16rocsparse_order_,comdat
	.globl	_ZN9rocsparseL28csrmmnn_general_block_reduceILj1024EliffEEvT0_PKT1_PKT3_PT2_l16rocsparse_order_ ; -- Begin function _ZN9rocsparseL28csrmmnn_general_block_reduceILj1024EliffEEvT0_PKT1_PKT3_PT2_l16rocsparse_order_
	.p2align	8
	.type	_ZN9rocsparseL28csrmmnn_general_block_reduceILj1024EliffEEvT0_PKT1_PKT3_PT2_l16rocsparse_order_,@function
_ZN9rocsparseL28csrmmnn_general_block_reduceILj1024EliffEEvT0_PKT1_PKT3_PT2_l16rocsparse_order_: ; @_ZN9rocsparseL28csrmmnn_general_block_reduceILj1024EliffEEvT0_PKT1_PKT3_PT2_l16rocsparse_order_
; %bb.0:
	s_load_dwordx2 s[34:35], s[4:5], 0x0
	v_mov_b32_e32 v1, 0
	v_mov_b32_e32 v2, -1
	v_lshlrev_b32_e32 v10, 3, v0
	v_mov_b32_e32 v3, v2
	s_waitcnt lgkmcnt(0)
	v_cmp_gt_i64_e32 vcc, s[34:35], v[0:1]
	ds_write_b64 v10, v[2:3]
	v_lshlrev_b32_e32 v2, 2, v0
	ds_write_b32 v2, v1 offset:8192
	s_waitcnt lgkmcnt(0)
	s_barrier
	s_and_saveexec_b64 s[0:1], vcc
	s_cbranch_execz .LBB4_50
; %bb.1:
	s_load_dwordx8 s[24:31], s[4:5], 0x8
	s_load_dword s20, s[4:5], 0x28
	s_mov_b32 s7, 0
	s_lshl_b64 s[0:1], s[6:7], 2
	s_movk_i32 s7, 0x7f
	s_waitcnt lgkmcnt(0)
	s_add_u32 s33, s28, s0
	v_cmp_lt_u32_e64 s[14:15], s7, v0
	s_movk_i32 s7, 0xff
	s_addc_u32 s38, s29, s1
	v_cmp_lt_u32_e64 s[16:17], s7, v0
	s_movk_i32 s7, 0x1ff
	v_cmp_lt_u32_e64 s[18:19], s7, v0
	s_cmp_lg_u32 s20, 1
	s_mul_i32 s7, s31, s6
	s_mul_hi_u32 s20, s30, s6
	s_cselect_b64 s[36:37], -1, 0
	s_add_i32 s21, s20, s7
	s_mul_i32 s20, s30, s6
	s_lshl_b64 s[20:21], s[20:21], 2
	s_add_u32 s28, s28, s20
	s_mul_i32 s7, s35, s6
	s_mul_hi_u32 s20, s34, s6
	s_addc_u32 s29, s29, s21
	s_add_i32 s7, s20, s7
	s_mul_i32 s6, s34, s6
	s_lshl_b64 s[6:7], s[6:7], 2
	s_add_u32 s6, s26, s6
	v_lshlrev_b32_e32 v4, 2, v0
	s_addc_u32 s7, s27, s7
	v_or_b32_e32 v11, 0x2000, v2
	v_mov_b32_e32 v3, s7
	v_add_co_u32_e32 v2, vcc, s6, v4
	v_addc_co_u32_e32 v3, vcc, 0, v3, vcc
	v_mov_b32_e32 v5, s25
	v_add_co_u32_e32 v4, vcc, s24, v4
	s_movk_i32 s6, 0x3ff
	v_cmp_ne_u32_e64 s[0:1], 0, v0
	v_cmp_lt_u32_e64 s[2:3], 1, v0
	v_add_u32_e32 v12, -8, v11
	v_cmp_lt_u32_e64 s[4:5], 3, v0
	v_subrev_u32_e32 v13, 32, v10
	v_add_u32_e32 v14, -16, v11
	v_cmp_lt_u32_e64 s[22:23], 7, v0
	v_subrev_u32_e32 v15, 64, v10
	v_subrev_u32_e32 v16, 32, v11
	v_cmp_lt_u32_e64 s[8:9], 15, v0
	v_add_u32_e32 v17, 0xffffff80, v10
	v_subrev_u32_e32 v18, 64, v11
	v_cmp_lt_u32_e64 s[10:11], 31, v0
	v_add_u32_e32 v19, 0xffffff00, v10
	v_add_u32_e32 v20, 0xffffff80, v11
	v_cmp_lt_u32_e64 s[12:13], 63, v0
	v_add_u32_e32 v21, 0xfffffe00, v10
	v_add_u32_e32 v22, 0xffffff00, v11
	;; [unrolled: 1-line block ×7, first 2 shown]
	v_addc_co_u32_e32 v5, vcc, 0, v5, vcc
	v_add_u32_e32 v28, 0xfffff800, v11
	v_cmp_ne_u32_e64 s[20:21], s6, v0
	s_mov_b64 s[24:25], 0
	s_branch .LBB4_3
.LBB4_2:                                ;   in Loop: Header=BB4_3 Depth=1
	s_or_b64 exec, exec, s[6:7]
	v_add_co_u32_e32 v0, vcc, 0x400, v0
	v_addc_co_u32_e32 v1, vcc, 0, v1, vcc
	v_add_co_u32_e32 v2, vcc, 0x1000, v2
	v_addc_co_u32_e32 v3, vcc, 0, v3, vcc
	v_cmp_le_i64_e64 s[6:7], s[34:35], v[0:1]
	v_add_co_u32_e32 v4, vcc, 0x1000, v4
	s_or_b64 s[24:25], s[6:7], s[24:25]
	v_addc_co_u32_e32 v5, vcc, 0, v5, vcc
	s_waitcnt vmcnt(0)
	s_barrier
	s_andn2_b64 exec, exec, s[24:25]
	s_cbranch_execz .LBB4_50
.LBB4_3:                                ; =>This Inner Loop Header: Depth=1
	global_load_dword v7, v[4:5], off
	global_load_dword v9, v[2:3], off
	v_mov_b32_e32 v6, 0
	s_waitcnt vmcnt(1)
	v_ashrrev_i32_e32 v8, 31, v7
	s_waitcnt vmcnt(0)
	ds_write_b32 v11, v9
	ds_write_b64 v10, v[7:8]
	v_mov_b32_e32 v7, 0
	s_waitcnt lgkmcnt(0)
	s_barrier
	s_and_saveexec_b64 s[6:7], s[0:1]
	s_cbranch_execz .LBB4_7
; %bb.4:                                ;   in Loop: Header=BB4_3 Depth=1
	v_add_u32_e32 v7, -8, v10
	ds_read2_b64 v[29:32], v7 offset1:1
	v_mov_b32_e32 v7, 0
	s_waitcnt lgkmcnt(0)
	v_cmp_eq_u64_e32 vcc, v[31:32], v[29:30]
	s_and_saveexec_b64 s[26:27], vcc
; %bb.5:                                ;   in Loop: Header=BB4_3 Depth=1
	v_add_u32_e32 v7, -4, v11
	ds_read_b32 v7, v7
; %bb.6:                                ;   in Loop: Header=BB4_3 Depth=1
	s_or_b64 exec, exec, s[26:27]
.LBB4_7:                                ;   in Loop: Header=BB4_3 Depth=1
	s_or_b64 exec, exec, s[6:7]
	s_waitcnt lgkmcnt(0)
	s_barrier
	ds_read_b32 v8, v11
	s_waitcnt lgkmcnt(0)
	v_add_f32_e32 v7, v7, v8
	ds_write_b32 v11, v7
	s_waitcnt lgkmcnt(0)
	s_barrier
	s_and_saveexec_b64 s[6:7], s[2:3]
	s_cbranch_execz .LBB4_11
; %bb.8:                                ;   in Loop: Header=BB4_3 Depth=1
	v_add_u32_e32 v8, -16, v10
	ds_read_b64 v[6:7], v10
	ds_read_b64 v[8:9], v8
	s_waitcnt lgkmcnt(0)
	v_cmp_eq_u64_e32 vcc, v[6:7], v[8:9]
	v_mov_b32_e32 v6, 0
	s_and_saveexec_b64 s[26:27], vcc
; %bb.9:                                ;   in Loop: Header=BB4_3 Depth=1
	ds_read_b32 v6, v12
; %bb.10:                               ;   in Loop: Header=BB4_3 Depth=1
	s_or_b64 exec, exec, s[26:27]
.LBB4_11:                               ;   in Loop: Header=BB4_3 Depth=1
	s_or_b64 exec, exec, s[6:7]
	s_waitcnt lgkmcnt(0)
	s_barrier
	ds_read_b32 v7, v11
	s_waitcnt lgkmcnt(0)
	v_add_f32_e32 v6, v6, v7
	ds_write_b32 v11, v6
	v_mov_b32_e32 v6, 0
	v_mov_b32_e32 v7, 0
	s_waitcnt lgkmcnt(0)
	s_barrier
	s_and_saveexec_b64 s[6:7], s[4:5]
	s_cbranch_execz .LBB4_15
; %bb.12:                               ;   in Loop: Header=BB4_3 Depth=1
	ds_read_b64 v[7:8], v10
	ds_read_b64 v[29:30], v13
	s_waitcnt lgkmcnt(0)
	v_cmp_eq_u64_e32 vcc, v[7:8], v[29:30]
	v_mov_b32_e32 v7, 0
	s_and_saveexec_b64 s[26:27], vcc
; %bb.13:                               ;   in Loop: Header=BB4_3 Depth=1
	ds_read_b32 v7, v14
; %bb.14:                               ;   in Loop: Header=BB4_3 Depth=1
	s_or_b64 exec, exec, s[26:27]
.LBB4_15:                               ;   in Loop: Header=BB4_3 Depth=1
	s_or_b64 exec, exec, s[6:7]
	s_waitcnt lgkmcnt(0)
	s_barrier
	ds_read_b32 v8, v11
	s_waitcnt lgkmcnt(0)
	v_add_f32_e32 v7, v7, v8
	ds_write_b32 v11, v7
	s_waitcnt lgkmcnt(0)
	s_barrier
	s_and_saveexec_b64 s[6:7], s[22:23]
	s_cbranch_execz .LBB4_19
; %bb.16:                               ;   in Loop: Header=BB4_3 Depth=1
	ds_read_b64 v[6:7], v10
	ds_read_b64 v[8:9], v15
	s_waitcnt lgkmcnt(0)
	v_cmp_eq_u64_e32 vcc, v[6:7], v[8:9]
	v_mov_b32_e32 v6, 0
	s_and_saveexec_b64 s[26:27], vcc
; %bb.17:                               ;   in Loop: Header=BB4_3 Depth=1
	ds_read_b32 v6, v16
; %bb.18:                               ;   in Loop: Header=BB4_3 Depth=1
	s_or_b64 exec, exec, s[26:27]
.LBB4_19:                               ;   in Loop: Header=BB4_3 Depth=1
	s_or_b64 exec, exec, s[6:7]
	s_waitcnt lgkmcnt(0)
	s_barrier
	ds_read_b32 v7, v11
	s_waitcnt lgkmcnt(0)
	v_add_f32_e32 v6, v6, v7
	ds_write_b32 v11, v6
	v_mov_b32_e32 v6, 0
	v_mov_b32_e32 v7, 0
	s_waitcnt lgkmcnt(0)
	s_barrier
	s_and_saveexec_b64 s[6:7], s[8:9]
	s_cbranch_execz .LBB4_23
; %bb.20:                               ;   in Loop: Header=BB4_3 Depth=1
	ds_read_b64 v[7:8], v10
	ds_read_b64 v[29:30], v17
	s_waitcnt lgkmcnt(0)
	v_cmp_eq_u64_e32 vcc, v[7:8], v[29:30]
	v_mov_b32_e32 v7, 0
	s_and_saveexec_b64 s[26:27], vcc
; %bb.21:                               ;   in Loop: Header=BB4_3 Depth=1
	ds_read_b32 v7, v18
; %bb.22:                               ;   in Loop: Header=BB4_3 Depth=1
	s_or_b64 exec, exec, s[26:27]
.LBB4_23:                               ;   in Loop: Header=BB4_3 Depth=1
	s_or_b64 exec, exec, s[6:7]
	s_waitcnt lgkmcnt(0)
	s_barrier
	ds_read_b32 v8, v11
	s_waitcnt lgkmcnt(0)
	v_add_f32_e32 v7, v7, v8
	ds_write_b32 v11, v7
	s_waitcnt lgkmcnt(0)
	s_barrier
	s_and_saveexec_b64 s[6:7], s[10:11]
	s_cbranch_execz .LBB4_27
; %bb.24:                               ;   in Loop: Header=BB4_3 Depth=1
	ds_read_b64 v[6:7], v10
	ds_read_b64 v[8:9], v19
	s_waitcnt lgkmcnt(0)
	v_cmp_eq_u64_e32 vcc, v[6:7], v[8:9]
	v_mov_b32_e32 v6, 0
	s_and_saveexec_b64 s[26:27], vcc
; %bb.25:                               ;   in Loop: Header=BB4_3 Depth=1
	ds_read_b32 v6, v20
; %bb.26:                               ;   in Loop: Header=BB4_3 Depth=1
	s_or_b64 exec, exec, s[26:27]
.LBB4_27:                               ;   in Loop: Header=BB4_3 Depth=1
	;; [unrolled: 48-line block ×4, first 2 shown]
	s_or_b64 exec, exec, s[6:7]
	s_waitcnt lgkmcnt(0)
	s_barrier
	ds_read_b32 v7, v11
	v_mov_b32_e32 v8, -1
	v_mov_b32_e32 v9, -1
	s_waitcnt lgkmcnt(0)
	v_add_f32_e32 v6, v6, v7
	ds_write_b32 v11, v6
	s_waitcnt lgkmcnt(0)
	s_barrier
	ds_read_b64 v[6:7], v10
	s_and_saveexec_b64 s[6:7], s[20:21]
; %bb.44:                               ;   in Loop: Header=BB4_3 Depth=1
	ds_read_b64 v[8:9], v10 offset:8
; %bb.45:                               ;   in Loop: Header=BB4_3 Depth=1
	s_or_b64 exec, exec, s[6:7]
	s_waitcnt lgkmcnt(0)
	v_cmp_ne_u64_e32 vcc, v[6:7], v[8:9]
	v_cmp_lt_i64_e64 s[6:7], -1, v[6:7]
	s_and_b64 s[26:27], s[6:7], vcc
	s_and_saveexec_b64 s[6:7], s[26:27]
	s_cbranch_execz .LBB4_2
; %bb.46:                               ;   in Loop: Header=BB4_3 Depth=1
	s_mov_b64 s[26:27], -1
	s_and_b64 vcc, exec, s[36:37]
	s_cbranch_vccz .LBB4_48
; %bb.47:                               ;   in Loop: Header=BB4_3 Depth=1
	v_mul_lo_u32 v29, v7, s30
	v_mul_lo_u32 v30, v6, s31
	v_mad_u64_u32 v[8:9], s[26:27], v6, s30, 0
	s_mov_b64 s[26:27], 0
	v_add3_u32 v9, v9, v30, v29
	v_lshlrev_b64 v[8:9], 2, v[8:9]
	v_mov_b32_e32 v29, s38
	v_add_co_u32_e32 v8, vcc, s33, v8
	v_addc_co_u32_e32 v9, vcc, v29, v9, vcc
	global_load_dword v29, v[8:9], off
	ds_read_b32 v30, v11
	s_waitcnt vmcnt(0) lgkmcnt(0)
	v_add_f32_e32 v29, v29, v30
	global_store_dword v[8:9], v29, off
.LBB4_48:                               ;   in Loop: Header=BB4_3 Depth=1
	s_andn2_b64 vcc, exec, s[26:27]
	s_cbranch_vccnz .LBB4_2
; %bb.49:                               ;   in Loop: Header=BB4_3 Depth=1
	v_lshlrev_b64 v[6:7], 2, v[6:7]
	v_mov_b32_e32 v8, s29
	v_add_co_u32_e32 v6, vcc, s28, v6
	v_addc_co_u32_e32 v7, vcc, v8, v7, vcc
	global_load_dword v8, v[6:7], off
	ds_read_b32 v9, v11
	s_waitcnt vmcnt(0) lgkmcnt(0)
	v_add_f32_e32 v8, v8, v9
	global_store_dword v[6:7], v8, off
	s_branch .LBB4_2
.LBB4_50:
	s_endpgm
	.section	.rodata,"a",@progbits
	.p2align	6, 0x0
	.amdhsa_kernel _ZN9rocsparseL28csrmmnn_general_block_reduceILj1024EliffEEvT0_PKT1_PKT3_PT2_l16rocsparse_order_
		.amdhsa_group_segment_fixed_size 12288
		.amdhsa_private_segment_fixed_size 0
		.amdhsa_kernarg_size 44
		.amdhsa_user_sgpr_count 6
		.amdhsa_user_sgpr_private_segment_buffer 1
		.amdhsa_user_sgpr_dispatch_ptr 0
		.amdhsa_user_sgpr_queue_ptr 0
		.amdhsa_user_sgpr_kernarg_segment_ptr 1
		.amdhsa_user_sgpr_dispatch_id 0
		.amdhsa_user_sgpr_flat_scratch_init 0
		.amdhsa_user_sgpr_private_segment_size 0
		.amdhsa_uses_dynamic_stack 0
		.amdhsa_system_sgpr_private_segment_wavefront_offset 0
		.amdhsa_system_sgpr_workgroup_id_x 1
		.amdhsa_system_sgpr_workgroup_id_y 0
		.amdhsa_system_sgpr_workgroup_id_z 0
		.amdhsa_system_sgpr_workgroup_info 0
		.amdhsa_system_vgpr_workitem_id 0
		.amdhsa_next_free_vgpr 33
		.amdhsa_next_free_sgpr 61
		.amdhsa_reserve_vcc 1
		.amdhsa_reserve_flat_scratch 0
		.amdhsa_float_round_mode_32 0
		.amdhsa_float_round_mode_16_64 0
		.amdhsa_float_denorm_mode_32 3
		.amdhsa_float_denorm_mode_16_64 3
		.amdhsa_dx10_clamp 1
		.amdhsa_ieee_mode 1
		.amdhsa_fp16_overflow 0
		.amdhsa_exception_fp_ieee_invalid_op 0
		.amdhsa_exception_fp_denorm_src 0
		.amdhsa_exception_fp_ieee_div_zero 0
		.amdhsa_exception_fp_ieee_overflow 0
		.amdhsa_exception_fp_ieee_underflow 0
		.amdhsa_exception_fp_ieee_inexact 0
		.amdhsa_exception_int_div_zero 0
	.end_amdhsa_kernel
	.section	.text._ZN9rocsparseL28csrmmnn_general_block_reduceILj1024EliffEEvT0_PKT1_PKT3_PT2_l16rocsparse_order_,"axG",@progbits,_ZN9rocsparseL28csrmmnn_general_block_reduceILj1024EliffEEvT0_PKT1_PKT3_PT2_l16rocsparse_order_,comdat
.Lfunc_end4:
	.size	_ZN9rocsparseL28csrmmnn_general_block_reduceILj1024EliffEEvT0_PKT1_PKT3_PT2_l16rocsparse_order_, .Lfunc_end4-_ZN9rocsparseL28csrmmnn_general_block_reduceILj1024EliffEEvT0_PKT1_PKT3_PT2_l16rocsparse_order_
                                        ; -- End function
	.set _ZN9rocsparseL28csrmmnn_general_block_reduceILj1024EliffEEvT0_PKT1_PKT3_PT2_l16rocsparse_order_.num_vgpr, 33
	.set _ZN9rocsparseL28csrmmnn_general_block_reduceILj1024EliffEEvT0_PKT1_PKT3_PT2_l16rocsparse_order_.num_agpr, 0
	.set _ZN9rocsparseL28csrmmnn_general_block_reduceILj1024EliffEEvT0_PKT1_PKT3_PT2_l16rocsparse_order_.numbered_sgpr, 39
	.set _ZN9rocsparseL28csrmmnn_general_block_reduceILj1024EliffEEvT0_PKT1_PKT3_PT2_l16rocsparse_order_.num_named_barrier, 0
	.set _ZN9rocsparseL28csrmmnn_general_block_reduceILj1024EliffEEvT0_PKT1_PKT3_PT2_l16rocsparse_order_.private_seg_size, 0
	.set _ZN9rocsparseL28csrmmnn_general_block_reduceILj1024EliffEEvT0_PKT1_PKT3_PT2_l16rocsparse_order_.uses_vcc, 1
	.set _ZN9rocsparseL28csrmmnn_general_block_reduceILj1024EliffEEvT0_PKT1_PKT3_PT2_l16rocsparse_order_.uses_flat_scratch, 0
	.set _ZN9rocsparseL28csrmmnn_general_block_reduceILj1024EliffEEvT0_PKT1_PKT3_PT2_l16rocsparse_order_.has_dyn_sized_stack, 0
	.set _ZN9rocsparseL28csrmmnn_general_block_reduceILj1024EliffEEvT0_PKT1_PKT3_PT2_l16rocsparse_order_.has_recursion, 0
	.set _ZN9rocsparseL28csrmmnn_general_block_reduceILj1024EliffEEvT0_PKT1_PKT3_PT2_l16rocsparse_order_.has_indirect_call, 0
	.section	.AMDGPU.csdata,"",@progbits
; Kernel info:
; codeLenInByte = 1780
; TotalNumSgprs: 43
; NumVgprs: 33
; ScratchSize: 0
; MemoryBound: 0
; FloatMode: 240
; IeeeMode: 1
; LDSByteSize: 12288 bytes/workgroup (compile time only)
; SGPRBlocks: 8
; VGPRBlocks: 8
; NumSGPRsForWavesPerEU: 65
; NumVGPRsForWavesPerEU: 33
; Occupancy: 7
; WaveLimiterHint : 0
; COMPUTE_PGM_RSRC2:SCRATCH_EN: 0
; COMPUTE_PGM_RSRC2:USER_SGPR: 6
; COMPUTE_PGM_RSRC2:TRAP_HANDLER: 0
; COMPUTE_PGM_RSRC2:TGID_X_EN: 1
; COMPUTE_PGM_RSRC2:TGID_Y_EN: 0
; COMPUTE_PGM_RSRC2:TGID_Z_EN: 0
; COMPUTE_PGM_RSRC2:TIDIG_COMP_CNT: 0
	.section	.text._ZN9rocsparseL28csrmmnn_general_block_reduceILj1024EllffEEvT0_PKT1_PKT3_PT2_l16rocsparse_order_,"axG",@progbits,_ZN9rocsparseL28csrmmnn_general_block_reduceILj1024EllffEEvT0_PKT1_PKT3_PT2_l16rocsparse_order_,comdat
	.globl	_ZN9rocsparseL28csrmmnn_general_block_reduceILj1024EllffEEvT0_PKT1_PKT3_PT2_l16rocsparse_order_ ; -- Begin function _ZN9rocsparseL28csrmmnn_general_block_reduceILj1024EllffEEvT0_PKT1_PKT3_PT2_l16rocsparse_order_
	.p2align	8
	.type	_ZN9rocsparseL28csrmmnn_general_block_reduceILj1024EllffEEvT0_PKT1_PKT3_PT2_l16rocsparse_order_,@function
_ZN9rocsparseL28csrmmnn_general_block_reduceILj1024EllffEEvT0_PKT1_PKT3_PT2_l16rocsparse_order_: ; @_ZN9rocsparseL28csrmmnn_general_block_reduceILj1024EllffEEvT0_PKT1_PKT3_PT2_l16rocsparse_order_
; %bb.0:
	s_load_dwordx2 s[34:35], s[4:5], 0x0
	v_mov_b32_e32 v1, 0
	v_mov_b32_e32 v2, -1
	v_lshlrev_b32_e32 v10, 3, v0
	v_mov_b32_e32 v3, v2
	s_waitcnt lgkmcnt(0)
	v_cmp_gt_i64_e32 vcc, s[34:35], v[0:1]
	ds_write_b64 v10, v[2:3]
	v_lshlrev_b32_e32 v2, 2, v0
	ds_write_b32 v2, v1 offset:8192
	s_waitcnt lgkmcnt(0)
	s_barrier
	s_and_saveexec_b64 s[0:1], vcc
	s_cbranch_execz .LBB5_50
; %bb.1:
	s_load_dwordx8 s[24:31], s[4:5], 0x8
	s_load_dword s20, s[4:5], 0x28
	s_mov_b32 s7, 0
	s_lshl_b64 s[0:1], s[6:7], 2
	s_movk_i32 s7, 0x7f
	s_waitcnt lgkmcnt(0)
	s_add_u32 s33, s28, s0
	v_cmp_lt_u32_e64 s[14:15], s7, v0
	s_movk_i32 s7, 0xff
	s_addc_u32 s38, s29, s1
	v_cmp_lt_u32_e64 s[16:17], s7, v0
	s_movk_i32 s7, 0x1ff
	v_cmp_lt_u32_e64 s[18:19], s7, v0
	s_cmp_lg_u32 s20, 1
	s_mul_i32 s7, s31, s6
	s_mul_hi_u32 s20, s30, s6
	s_cselect_b64 s[36:37], -1, 0
	s_add_i32 s21, s20, s7
	s_mul_i32 s20, s30, s6
	s_lshl_b64 s[20:21], s[20:21], 2
	s_add_u32 s28, s28, s20
	s_mul_i32 s7, s35, s6
	s_mul_hi_u32 s20, s34, s6
	s_addc_u32 s29, s29, s21
	s_add_i32 s7, s20, s7
	s_mul_i32 s6, s34, s6
	s_lshl_b64 s[6:7], s[6:7], 2
	s_add_u32 s6, s26, s6
	v_or_b32_e32 v11, 0x2000, v2
	v_lshlrev_b32_e32 v2, 2, v0
	s_addc_u32 s7, s27, s7
	v_mov_b32_e32 v3, s7
	v_add_co_u32_e32 v2, vcc, s6, v2
	v_addc_co_u32_e32 v3, vcc, 0, v3, vcc
	v_lshlrev_b32_e32 v4, 3, v0
	v_mov_b32_e32 v5, s25
	v_add_co_u32_e32 v4, vcc, s24, v4
	s_movk_i32 s6, 0x3ff
	v_cmp_ne_u32_e64 s[0:1], 0, v0
	v_cmp_lt_u32_e64 s[2:3], 1, v0
	v_add_u32_e32 v12, -8, v11
	v_cmp_lt_u32_e64 s[4:5], 3, v0
	v_subrev_u32_e32 v13, 32, v10
	v_add_u32_e32 v14, -16, v11
	v_cmp_lt_u32_e64 s[22:23], 7, v0
	v_subrev_u32_e32 v15, 64, v10
	v_subrev_u32_e32 v16, 32, v11
	v_cmp_lt_u32_e64 s[8:9], 15, v0
	v_add_u32_e32 v17, 0xffffff80, v10
	v_subrev_u32_e32 v18, 64, v11
	v_cmp_lt_u32_e64 s[10:11], 31, v0
	v_add_u32_e32 v19, 0xffffff00, v10
	v_add_u32_e32 v20, 0xffffff80, v11
	v_cmp_lt_u32_e64 s[12:13], 63, v0
	v_add_u32_e32 v21, 0xfffffe00, v10
	v_add_u32_e32 v22, 0xffffff00, v11
	;; [unrolled: 1-line block ×7, first 2 shown]
	v_addc_co_u32_e32 v5, vcc, 0, v5, vcc
	v_add_u32_e32 v28, 0xfffff800, v11
	v_cmp_ne_u32_e64 s[20:21], s6, v0
	s_mov_b64 s[24:25], 0
	s_branch .LBB5_3
.LBB5_2:                                ;   in Loop: Header=BB5_3 Depth=1
	s_or_b64 exec, exec, s[6:7]
	v_add_co_u32_e32 v0, vcc, 0x400, v0
	v_addc_co_u32_e32 v1, vcc, 0, v1, vcc
	v_add_co_u32_e32 v2, vcc, 0x1000, v2
	v_addc_co_u32_e32 v3, vcc, 0, v3, vcc
	v_cmp_le_i64_e64 s[6:7], s[34:35], v[0:1]
	v_add_co_u32_e32 v4, vcc, 0x2000, v4
	s_or_b64 s[24:25], s[6:7], s[24:25]
	v_addc_co_u32_e32 v5, vcc, 0, v5, vcc
	s_waitcnt vmcnt(0)
	s_barrier
	s_andn2_b64 exec, exec, s[24:25]
	s_cbranch_execz .LBB5_50
.LBB5_3:                                ; =>This Inner Loop Header: Depth=1
	global_load_dwordx2 v[7:8], v[4:5], off
	global_load_dword v9, v[2:3], off
	v_mov_b32_e32 v6, 0
	s_waitcnt vmcnt(1)
	ds_write_b64 v10, v[7:8]
	s_waitcnt vmcnt(0)
	ds_write_b32 v11, v9
	v_mov_b32_e32 v7, 0
	s_waitcnt lgkmcnt(0)
	s_barrier
	s_and_saveexec_b64 s[6:7], s[0:1]
	s_cbranch_execz .LBB5_7
; %bb.4:                                ;   in Loop: Header=BB5_3 Depth=1
	v_add_u32_e32 v7, -8, v10
	ds_read2_b64 v[29:32], v7 offset1:1
	v_mov_b32_e32 v7, 0
	s_waitcnt lgkmcnt(0)
	v_cmp_eq_u64_e32 vcc, v[31:32], v[29:30]
	s_and_saveexec_b64 s[26:27], vcc
; %bb.5:                                ;   in Loop: Header=BB5_3 Depth=1
	v_add_u32_e32 v7, -4, v11
	ds_read_b32 v7, v7
; %bb.6:                                ;   in Loop: Header=BB5_3 Depth=1
	s_or_b64 exec, exec, s[26:27]
.LBB5_7:                                ;   in Loop: Header=BB5_3 Depth=1
	s_or_b64 exec, exec, s[6:7]
	s_waitcnt lgkmcnt(0)
	s_barrier
	ds_read_b32 v8, v11
	s_waitcnt lgkmcnt(0)
	v_add_f32_e32 v7, v7, v8
	ds_write_b32 v11, v7
	s_waitcnt lgkmcnt(0)
	s_barrier
	s_and_saveexec_b64 s[6:7], s[2:3]
	s_cbranch_execz .LBB5_11
; %bb.8:                                ;   in Loop: Header=BB5_3 Depth=1
	v_add_u32_e32 v8, -16, v10
	ds_read_b64 v[6:7], v10
	ds_read_b64 v[8:9], v8
	s_waitcnt lgkmcnt(0)
	v_cmp_eq_u64_e32 vcc, v[6:7], v[8:9]
	v_mov_b32_e32 v6, 0
	s_and_saveexec_b64 s[26:27], vcc
; %bb.9:                                ;   in Loop: Header=BB5_3 Depth=1
	ds_read_b32 v6, v12
; %bb.10:                               ;   in Loop: Header=BB5_3 Depth=1
	s_or_b64 exec, exec, s[26:27]
.LBB5_11:                               ;   in Loop: Header=BB5_3 Depth=1
	s_or_b64 exec, exec, s[6:7]
	s_waitcnt lgkmcnt(0)
	s_barrier
	ds_read_b32 v7, v11
	s_waitcnt lgkmcnt(0)
	v_add_f32_e32 v6, v6, v7
	ds_write_b32 v11, v6
	v_mov_b32_e32 v6, 0
	v_mov_b32_e32 v7, 0
	s_waitcnt lgkmcnt(0)
	s_barrier
	s_and_saveexec_b64 s[6:7], s[4:5]
	s_cbranch_execz .LBB5_15
; %bb.12:                               ;   in Loop: Header=BB5_3 Depth=1
	ds_read_b64 v[7:8], v10
	ds_read_b64 v[29:30], v13
	s_waitcnt lgkmcnt(0)
	v_cmp_eq_u64_e32 vcc, v[7:8], v[29:30]
	v_mov_b32_e32 v7, 0
	s_and_saveexec_b64 s[26:27], vcc
; %bb.13:                               ;   in Loop: Header=BB5_3 Depth=1
	ds_read_b32 v7, v14
; %bb.14:                               ;   in Loop: Header=BB5_3 Depth=1
	s_or_b64 exec, exec, s[26:27]
.LBB5_15:                               ;   in Loop: Header=BB5_3 Depth=1
	s_or_b64 exec, exec, s[6:7]
	s_waitcnt lgkmcnt(0)
	s_barrier
	ds_read_b32 v8, v11
	s_waitcnt lgkmcnt(0)
	v_add_f32_e32 v7, v7, v8
	ds_write_b32 v11, v7
	s_waitcnt lgkmcnt(0)
	s_barrier
	s_and_saveexec_b64 s[6:7], s[22:23]
	s_cbranch_execz .LBB5_19
; %bb.16:                               ;   in Loop: Header=BB5_3 Depth=1
	ds_read_b64 v[6:7], v10
	ds_read_b64 v[8:9], v15
	s_waitcnt lgkmcnt(0)
	v_cmp_eq_u64_e32 vcc, v[6:7], v[8:9]
	v_mov_b32_e32 v6, 0
	s_and_saveexec_b64 s[26:27], vcc
; %bb.17:                               ;   in Loop: Header=BB5_3 Depth=1
	ds_read_b32 v6, v16
; %bb.18:                               ;   in Loop: Header=BB5_3 Depth=1
	s_or_b64 exec, exec, s[26:27]
.LBB5_19:                               ;   in Loop: Header=BB5_3 Depth=1
	s_or_b64 exec, exec, s[6:7]
	s_waitcnt lgkmcnt(0)
	s_barrier
	ds_read_b32 v7, v11
	s_waitcnt lgkmcnt(0)
	v_add_f32_e32 v6, v6, v7
	ds_write_b32 v11, v6
	v_mov_b32_e32 v6, 0
	v_mov_b32_e32 v7, 0
	s_waitcnt lgkmcnt(0)
	s_barrier
	s_and_saveexec_b64 s[6:7], s[8:9]
	s_cbranch_execz .LBB5_23
; %bb.20:                               ;   in Loop: Header=BB5_3 Depth=1
	ds_read_b64 v[7:8], v10
	ds_read_b64 v[29:30], v17
	s_waitcnt lgkmcnt(0)
	v_cmp_eq_u64_e32 vcc, v[7:8], v[29:30]
	v_mov_b32_e32 v7, 0
	s_and_saveexec_b64 s[26:27], vcc
; %bb.21:                               ;   in Loop: Header=BB5_3 Depth=1
	ds_read_b32 v7, v18
; %bb.22:                               ;   in Loop: Header=BB5_3 Depth=1
	s_or_b64 exec, exec, s[26:27]
.LBB5_23:                               ;   in Loop: Header=BB5_3 Depth=1
	s_or_b64 exec, exec, s[6:7]
	s_waitcnt lgkmcnt(0)
	s_barrier
	ds_read_b32 v8, v11
	s_waitcnt lgkmcnt(0)
	v_add_f32_e32 v7, v7, v8
	ds_write_b32 v11, v7
	s_waitcnt lgkmcnt(0)
	s_barrier
	s_and_saveexec_b64 s[6:7], s[10:11]
	s_cbranch_execz .LBB5_27
; %bb.24:                               ;   in Loop: Header=BB5_3 Depth=1
	ds_read_b64 v[6:7], v10
	ds_read_b64 v[8:9], v19
	s_waitcnt lgkmcnt(0)
	v_cmp_eq_u64_e32 vcc, v[6:7], v[8:9]
	v_mov_b32_e32 v6, 0
	s_and_saveexec_b64 s[26:27], vcc
; %bb.25:                               ;   in Loop: Header=BB5_3 Depth=1
	ds_read_b32 v6, v20
; %bb.26:                               ;   in Loop: Header=BB5_3 Depth=1
	s_or_b64 exec, exec, s[26:27]
.LBB5_27:                               ;   in Loop: Header=BB5_3 Depth=1
	;; [unrolled: 48-line block ×4, first 2 shown]
	s_or_b64 exec, exec, s[6:7]
	s_waitcnt lgkmcnt(0)
	s_barrier
	ds_read_b32 v7, v11
	v_mov_b32_e32 v8, -1
	v_mov_b32_e32 v9, -1
	s_waitcnt lgkmcnt(0)
	v_add_f32_e32 v6, v6, v7
	ds_write_b32 v11, v6
	s_waitcnt lgkmcnt(0)
	s_barrier
	ds_read_b64 v[6:7], v10
	s_and_saveexec_b64 s[6:7], s[20:21]
; %bb.44:                               ;   in Loop: Header=BB5_3 Depth=1
	ds_read_b64 v[8:9], v10 offset:8
; %bb.45:                               ;   in Loop: Header=BB5_3 Depth=1
	s_or_b64 exec, exec, s[6:7]
	s_waitcnt lgkmcnt(0)
	v_cmp_ne_u64_e32 vcc, v[6:7], v[8:9]
	v_cmp_lt_i64_e64 s[6:7], -1, v[6:7]
	s_and_b64 s[26:27], s[6:7], vcc
	s_and_saveexec_b64 s[6:7], s[26:27]
	s_cbranch_execz .LBB5_2
; %bb.46:                               ;   in Loop: Header=BB5_3 Depth=1
	s_mov_b64 s[26:27], -1
	s_and_b64 vcc, exec, s[36:37]
	s_cbranch_vccz .LBB5_48
; %bb.47:                               ;   in Loop: Header=BB5_3 Depth=1
	v_mul_lo_u32 v29, v7, s30
	v_mul_lo_u32 v30, v6, s31
	v_mad_u64_u32 v[8:9], s[26:27], v6, s30, 0
	s_mov_b64 s[26:27], 0
	v_add3_u32 v9, v9, v30, v29
	v_lshlrev_b64 v[8:9], 2, v[8:9]
	v_mov_b32_e32 v29, s38
	v_add_co_u32_e32 v8, vcc, s33, v8
	v_addc_co_u32_e32 v9, vcc, v29, v9, vcc
	global_load_dword v29, v[8:9], off
	ds_read_b32 v30, v11
	s_waitcnt vmcnt(0) lgkmcnt(0)
	v_add_f32_e32 v29, v29, v30
	global_store_dword v[8:9], v29, off
.LBB5_48:                               ;   in Loop: Header=BB5_3 Depth=1
	s_andn2_b64 vcc, exec, s[26:27]
	s_cbranch_vccnz .LBB5_2
; %bb.49:                               ;   in Loop: Header=BB5_3 Depth=1
	v_lshlrev_b64 v[6:7], 2, v[6:7]
	v_mov_b32_e32 v8, s29
	v_add_co_u32_e32 v6, vcc, s28, v6
	v_addc_co_u32_e32 v7, vcc, v8, v7, vcc
	global_load_dword v8, v[6:7], off
	ds_read_b32 v9, v11
	s_waitcnt vmcnt(0) lgkmcnt(0)
	v_add_f32_e32 v8, v8, v9
	global_store_dword v[6:7], v8, off
	s_branch .LBB5_2
.LBB5_50:
	s_endpgm
	.section	.rodata,"a",@progbits
	.p2align	6, 0x0
	.amdhsa_kernel _ZN9rocsparseL28csrmmnn_general_block_reduceILj1024EllffEEvT0_PKT1_PKT3_PT2_l16rocsparse_order_
		.amdhsa_group_segment_fixed_size 12288
		.amdhsa_private_segment_fixed_size 0
		.amdhsa_kernarg_size 44
		.amdhsa_user_sgpr_count 6
		.amdhsa_user_sgpr_private_segment_buffer 1
		.amdhsa_user_sgpr_dispatch_ptr 0
		.amdhsa_user_sgpr_queue_ptr 0
		.amdhsa_user_sgpr_kernarg_segment_ptr 1
		.amdhsa_user_sgpr_dispatch_id 0
		.amdhsa_user_sgpr_flat_scratch_init 0
		.amdhsa_user_sgpr_private_segment_size 0
		.amdhsa_uses_dynamic_stack 0
		.amdhsa_system_sgpr_private_segment_wavefront_offset 0
		.amdhsa_system_sgpr_workgroup_id_x 1
		.amdhsa_system_sgpr_workgroup_id_y 0
		.amdhsa_system_sgpr_workgroup_id_z 0
		.amdhsa_system_sgpr_workgroup_info 0
		.amdhsa_system_vgpr_workitem_id 0
		.amdhsa_next_free_vgpr 33
		.amdhsa_next_free_sgpr 61
		.amdhsa_reserve_vcc 1
		.amdhsa_reserve_flat_scratch 0
		.amdhsa_float_round_mode_32 0
		.amdhsa_float_round_mode_16_64 0
		.amdhsa_float_denorm_mode_32 3
		.amdhsa_float_denorm_mode_16_64 3
		.amdhsa_dx10_clamp 1
		.amdhsa_ieee_mode 1
		.amdhsa_fp16_overflow 0
		.amdhsa_exception_fp_ieee_invalid_op 0
		.amdhsa_exception_fp_denorm_src 0
		.amdhsa_exception_fp_ieee_div_zero 0
		.amdhsa_exception_fp_ieee_overflow 0
		.amdhsa_exception_fp_ieee_underflow 0
		.amdhsa_exception_fp_ieee_inexact 0
		.amdhsa_exception_int_div_zero 0
	.end_amdhsa_kernel
	.section	.text._ZN9rocsparseL28csrmmnn_general_block_reduceILj1024EllffEEvT0_PKT1_PKT3_PT2_l16rocsparse_order_,"axG",@progbits,_ZN9rocsparseL28csrmmnn_general_block_reduceILj1024EllffEEvT0_PKT1_PKT3_PT2_l16rocsparse_order_,comdat
.Lfunc_end5:
	.size	_ZN9rocsparseL28csrmmnn_general_block_reduceILj1024EllffEEvT0_PKT1_PKT3_PT2_l16rocsparse_order_, .Lfunc_end5-_ZN9rocsparseL28csrmmnn_general_block_reduceILj1024EllffEEvT0_PKT1_PKT3_PT2_l16rocsparse_order_
                                        ; -- End function
	.set _ZN9rocsparseL28csrmmnn_general_block_reduceILj1024EllffEEvT0_PKT1_PKT3_PT2_l16rocsparse_order_.num_vgpr, 33
	.set _ZN9rocsparseL28csrmmnn_general_block_reduceILj1024EllffEEvT0_PKT1_PKT3_PT2_l16rocsparse_order_.num_agpr, 0
	.set _ZN9rocsparseL28csrmmnn_general_block_reduceILj1024EllffEEvT0_PKT1_PKT3_PT2_l16rocsparse_order_.numbered_sgpr, 39
	.set _ZN9rocsparseL28csrmmnn_general_block_reduceILj1024EllffEEvT0_PKT1_PKT3_PT2_l16rocsparse_order_.num_named_barrier, 0
	.set _ZN9rocsparseL28csrmmnn_general_block_reduceILj1024EllffEEvT0_PKT1_PKT3_PT2_l16rocsparse_order_.private_seg_size, 0
	.set _ZN9rocsparseL28csrmmnn_general_block_reduceILj1024EllffEEvT0_PKT1_PKT3_PT2_l16rocsparse_order_.uses_vcc, 1
	.set _ZN9rocsparseL28csrmmnn_general_block_reduceILj1024EllffEEvT0_PKT1_PKT3_PT2_l16rocsparse_order_.uses_flat_scratch, 0
	.set _ZN9rocsparseL28csrmmnn_general_block_reduceILj1024EllffEEvT0_PKT1_PKT3_PT2_l16rocsparse_order_.has_dyn_sized_stack, 0
	.set _ZN9rocsparseL28csrmmnn_general_block_reduceILj1024EllffEEvT0_PKT1_PKT3_PT2_l16rocsparse_order_.has_recursion, 0
	.set _ZN9rocsparseL28csrmmnn_general_block_reduceILj1024EllffEEvT0_PKT1_PKT3_PT2_l16rocsparse_order_.has_indirect_call, 0
	.section	.AMDGPU.csdata,"",@progbits
; Kernel info:
; codeLenInByte = 1780
; TotalNumSgprs: 43
; NumVgprs: 33
; ScratchSize: 0
; MemoryBound: 0
; FloatMode: 240
; IeeeMode: 1
; LDSByteSize: 12288 bytes/workgroup (compile time only)
; SGPRBlocks: 8
; VGPRBlocks: 8
; NumSGPRsForWavesPerEU: 65
; NumVGPRsForWavesPerEU: 33
; Occupancy: 7
; WaveLimiterHint : 0
; COMPUTE_PGM_RSRC2:SCRATCH_EN: 0
; COMPUTE_PGM_RSRC2:USER_SGPR: 6
; COMPUTE_PGM_RSRC2:TRAP_HANDLER: 0
; COMPUTE_PGM_RSRC2:TGID_X_EN: 1
; COMPUTE_PGM_RSRC2:TGID_Y_EN: 0
; COMPUTE_PGM_RSRC2:TGID_Z_EN: 0
; COMPUTE_PGM_RSRC2:TIDIG_COMP_CNT: 0
	.section	.text._ZN9rocsparseL28csrmmnn_general_block_reduceILj1024EiiddEEvT0_PKT1_PKT3_PT2_l16rocsparse_order_,"axG",@progbits,_ZN9rocsparseL28csrmmnn_general_block_reduceILj1024EiiddEEvT0_PKT1_PKT3_PT2_l16rocsparse_order_,comdat
	.globl	_ZN9rocsparseL28csrmmnn_general_block_reduceILj1024EiiddEEvT0_PKT1_PKT3_PT2_l16rocsparse_order_ ; -- Begin function _ZN9rocsparseL28csrmmnn_general_block_reduceILj1024EiiddEEvT0_PKT1_PKT3_PT2_l16rocsparse_order_
	.p2align	8
	.type	_ZN9rocsparseL28csrmmnn_general_block_reduceILj1024EiiddEEvT0_PKT1_PKT3_PT2_l16rocsparse_order_,@function
_ZN9rocsparseL28csrmmnn_general_block_reduceILj1024EiiddEEvT0_PKT1_PKT3_PT2_l16rocsparse_order_: ; @_ZN9rocsparseL28csrmmnn_general_block_reduceILj1024EiiddEEvT0_PKT1_PKT3_PT2_l16rocsparse_order_
; %bb.0:
	s_load_dword s33, s[4:5], 0x0
	v_lshlrev_b32_e32 v3, 2, v0
	v_mov_b32_e32 v1, -1
	v_mov_b32_e32 v2, 0
	ds_write_b32 v3, v1 offset:8192
	v_lshlrev_b32_e32 v7, 3, v0
	v_mov_b32_e32 v1, v2
	s_waitcnt lgkmcnt(0)
	v_cmp_gt_i32_e32 vcc, s33, v0
	ds_write_b64 v7, v[1:2]
	s_waitcnt lgkmcnt(0)
	s_barrier
	s_and_saveexec_b64 s[0:1], vcc
	s_cbranch_execz .LBB6_50
; %bb.1:
	s_load_dword s7, s[4:5], 0x28
	s_load_dwordx8 s[24:31], s[4:5], 0x8
	s_mul_i32 s38, s33, s6
	v_or_b32_e32 v8, 0x2000, v3
	s_movk_i32 s14, 0x7f
	s_waitcnt lgkmcnt(0)
	s_cmp_lg_u32 s7, 1
	s_cselect_b64 s[34:35], -1, 0
	s_ashr_i32 s7, s6, 31
	s_lshl_b64 s[36:37], s[6:7], 3
	s_add_u32 s39, s28, s36
	s_mul_hi_u32 s36, s30, s6
	s_mul_i32 s7, s30, s7
	s_addc_u32 s40, s29, s37
	s_add_i32 s7, s36, s7
	s_mul_i32 s36, s31, s6
	s_add_i32 s7, s7, s36
	s_mul_i32 s6, s30, s6
	s_lshl_b64 s[6:7], s[6:7], 3
	s_movk_i32 s16, 0xff
	s_movk_i32 s18, 0x1ff
	;; [unrolled: 1-line block ×3, first 2 shown]
	s_add_u32 s41, s28, s6
	v_cmp_ne_u32_e64 s[0:1], 0, v0
	v_cmp_lt_u32_e64 s[2:3], 1, v0
	v_add_u32_e32 v9, -16, v7
	v_cmp_lt_u32_e64 s[4:5], 3, v0
	v_add_u32_e32 v10, -16, v8
	v_subrev_u32_e32 v11, 32, v7
	v_cmp_lt_u32_e64 s[22:23], 7, v0
	v_subrev_u32_e32 v12, 32, v8
	v_subrev_u32_e32 v13, 64, v7
	v_cmp_lt_u32_e64 s[8:9], 15, v0
	v_subrev_u32_e32 v14, 64, v8
	v_add_u32_e32 v15, 0xffffff80, v7
	v_cmp_lt_u32_e64 s[10:11], 31, v0
	v_add_u32_e32 v16, 0xffffff80, v8
	v_add_u32_e32 v17, 0xffffff00, v7
	v_cmp_lt_u32_e64 s[12:13], 63, v0
	v_add_u32_e32 v18, 0xffffff00, v8
	;; [unrolled: 3-line block ×5, first 2 shown]
	v_add_u32_e32 v25, 0xfffff000, v7
	v_cmp_ne_u32_e64 s[20:21], s20, v0
	s_addc_u32 s42, s29, s7
	s_mov_b64 s[28:29], 0
	v_mov_b32_e32 v26, s25
	v_mov_b32_e32 v27, s27
	s_branch .LBB6_3
.LBB6_2:                                ;   in Loop: Header=BB6_3 Depth=1
	s_or_b64 exec, exec, s[6:7]
	v_add_u32_e32 v0, 0x400, v0
	v_cmp_le_i32_e32 vcc, s33, v0
	s_or_b64 s[28:29], vcc, s[28:29]
	s_waitcnt vmcnt(0)
	s_barrier
	s_andn2_b64 exec, exec, s[28:29]
	s_cbranch_execz .LBB6_50
.LBB6_3:                                ; =>This Inner Loop Header: Depth=1
	v_ashrrev_i32_e32 v1, 31, v0
	v_lshlrev_b64 v[3:4], 2, v[0:1]
	v_mov_b32_e32 v5, 0
	v_add_co_u32_e32 v3, vcc, s24, v3
	v_addc_co_u32_e32 v4, vcc, v26, v4, vcc
	global_load_dword v1, v[3:4], off
	v_add_u32_e32 v3, s38, v0
	v_ashrrev_i32_e32 v4, 31, v3
	v_lshlrev_b64 v[3:4], 3, v[3:4]
	v_mov_b32_e32 v6, 0
	v_add_co_u32_e32 v3, vcc, s26, v3
	v_addc_co_u32_e32 v4, vcc, v27, v4, vcc
	global_load_dwordx2 v[28:29], v[3:4], off
	v_mov_b32_e32 v3, 0
	v_mov_b32_e32 v4, 0
	s_waitcnt vmcnt(1)
	ds_write_b32 v8, v1
	s_waitcnt vmcnt(0)
	ds_write_b64 v7, v[28:29]
	s_waitcnt lgkmcnt(0)
	s_barrier
	s_and_saveexec_b64 s[6:7], s[0:1]
	s_cbranch_execz .LBB6_7
; %bb.4:                                ;   in Loop: Header=BB6_3 Depth=1
	v_add_u32_e32 v1, -4, v8
	ds_read2_b32 v[28:29], v1 offset1:1
	v_mov_b32_e32 v5, 0
	v_mov_b32_e32 v6, 0
	s_waitcnt lgkmcnt(0)
	v_cmp_eq_u32_e32 vcc, v29, v28
	s_and_saveexec_b64 s[36:37], vcc
; %bb.5:                                ;   in Loop: Header=BB6_3 Depth=1
	v_add_u32_e32 v1, -8, v7
	ds_read_b64 v[5:6], v1
; %bb.6:                                ;   in Loop: Header=BB6_3 Depth=1
	s_or_b64 exec, exec, s[36:37]
.LBB6_7:                                ;   in Loop: Header=BB6_3 Depth=1
	s_or_b64 exec, exec, s[6:7]
	s_waitcnt lgkmcnt(0)
	s_barrier
	ds_read_b64 v[28:29], v7
	s_waitcnt lgkmcnt(0)
	v_add_f64 v[5:6], v[5:6], v[28:29]
	ds_write_b64 v7, v[5:6]
	s_waitcnt lgkmcnt(0)
	s_barrier
	s_and_saveexec_b64 s[6:7], s[2:3]
	s_cbranch_execz .LBB6_11
; %bb.8:                                ;   in Loop: Header=BB6_3 Depth=1
	v_add_u32_e32 v1, -8, v8
	ds_read_b32 v5, v8
	ds_read_b32 v1, v1
	v_mov_b32_e32 v3, 0
	v_mov_b32_e32 v4, 0
	s_waitcnt lgkmcnt(0)
	v_cmp_eq_u32_e32 vcc, v5, v1
	s_and_saveexec_b64 s[36:37], vcc
; %bb.9:                                ;   in Loop: Header=BB6_3 Depth=1
	ds_read_b64 v[3:4], v9
; %bb.10:                               ;   in Loop: Header=BB6_3 Depth=1
	s_or_b64 exec, exec, s[36:37]
.LBB6_11:                               ;   in Loop: Header=BB6_3 Depth=1
	s_or_b64 exec, exec, s[6:7]
	s_waitcnt lgkmcnt(0)
	s_barrier
	ds_read_b64 v[5:6], v7
	s_waitcnt lgkmcnt(0)
	v_add_f64 v[28:29], v[3:4], v[5:6]
	v_mov_b32_e32 v3, 0
	v_mov_b32_e32 v5, 0
	v_mov_b32_e32 v4, 0
	v_mov_b32_e32 v6, 0
	ds_write_b64 v7, v[28:29]
	s_waitcnt lgkmcnt(0)
	s_barrier
	s_and_saveexec_b64 s[6:7], s[4:5]
	s_cbranch_execz .LBB6_15
; %bb.12:                               ;   in Loop: Header=BB6_3 Depth=1
	ds_read_b32 v1, v8
	ds_read_b32 v28, v10
	v_mov_b32_e32 v5, 0
	v_mov_b32_e32 v6, 0
	s_waitcnt lgkmcnt(0)
	v_cmp_eq_u32_e32 vcc, v1, v28
	s_and_saveexec_b64 s[36:37], vcc
; %bb.13:                               ;   in Loop: Header=BB6_3 Depth=1
	ds_read_b64 v[5:6], v11
; %bb.14:                               ;   in Loop: Header=BB6_3 Depth=1
	s_or_b64 exec, exec, s[36:37]
.LBB6_15:                               ;   in Loop: Header=BB6_3 Depth=1
	s_or_b64 exec, exec, s[6:7]
	s_waitcnt lgkmcnt(0)
	s_barrier
	ds_read_b64 v[28:29], v7
	s_waitcnt lgkmcnt(0)
	v_add_f64 v[5:6], v[5:6], v[28:29]
	ds_write_b64 v7, v[5:6]
	s_waitcnt lgkmcnt(0)
	s_barrier
	s_and_saveexec_b64 s[6:7], s[22:23]
	s_cbranch_execz .LBB6_19
; %bb.16:                               ;   in Loop: Header=BB6_3 Depth=1
	ds_read_b32 v1, v8
	ds_read_b32 v5, v12
	v_mov_b32_e32 v3, 0
	v_mov_b32_e32 v4, 0
	s_waitcnt lgkmcnt(0)
	v_cmp_eq_u32_e32 vcc, v1, v5
	s_and_saveexec_b64 s[36:37], vcc
; %bb.17:                               ;   in Loop: Header=BB6_3 Depth=1
	ds_read_b64 v[3:4], v13
; %bb.18:                               ;   in Loop: Header=BB6_3 Depth=1
	s_or_b64 exec, exec, s[36:37]
.LBB6_19:                               ;   in Loop: Header=BB6_3 Depth=1
	s_or_b64 exec, exec, s[6:7]
	s_waitcnt lgkmcnt(0)
	s_barrier
	ds_read_b64 v[5:6], v7
	s_waitcnt lgkmcnt(0)
	v_add_f64 v[28:29], v[3:4], v[5:6]
	v_mov_b32_e32 v3, 0
	v_mov_b32_e32 v5, 0
	v_mov_b32_e32 v4, 0
	v_mov_b32_e32 v6, 0
	ds_write_b64 v7, v[28:29]
	s_waitcnt lgkmcnt(0)
	s_barrier
	s_and_saveexec_b64 s[6:7], s[8:9]
	s_cbranch_execz .LBB6_23
; %bb.20:                               ;   in Loop: Header=BB6_3 Depth=1
	ds_read_b32 v1, v8
	ds_read_b32 v28, v14
	v_mov_b32_e32 v5, 0
	v_mov_b32_e32 v6, 0
	s_waitcnt lgkmcnt(0)
	v_cmp_eq_u32_e32 vcc, v1, v28
	s_and_saveexec_b64 s[36:37], vcc
; %bb.21:                               ;   in Loop: Header=BB6_3 Depth=1
	ds_read_b64 v[5:6], v15
; %bb.22:                               ;   in Loop: Header=BB6_3 Depth=1
	s_or_b64 exec, exec, s[36:37]
.LBB6_23:                               ;   in Loop: Header=BB6_3 Depth=1
	s_or_b64 exec, exec, s[6:7]
	s_waitcnt lgkmcnt(0)
	s_barrier
	ds_read_b64 v[28:29], v7
	s_waitcnt lgkmcnt(0)
	v_add_f64 v[5:6], v[5:6], v[28:29]
	ds_write_b64 v7, v[5:6]
	s_waitcnt lgkmcnt(0)
	s_barrier
	s_and_saveexec_b64 s[6:7], s[10:11]
	s_cbranch_execz .LBB6_27
; %bb.24:                               ;   in Loop: Header=BB6_3 Depth=1
	ds_read_b32 v1, v8
	ds_read_b32 v5, v16
	v_mov_b32_e32 v3, 0
	v_mov_b32_e32 v4, 0
	s_waitcnt lgkmcnt(0)
	v_cmp_eq_u32_e32 vcc, v1, v5
	s_and_saveexec_b64 s[36:37], vcc
; %bb.25:                               ;   in Loop: Header=BB6_3 Depth=1
	ds_read_b64 v[3:4], v17
; %bb.26:                               ;   in Loop: Header=BB6_3 Depth=1
	s_or_b64 exec, exec, s[36:37]
.LBB6_27:                               ;   in Loop: Header=BB6_3 Depth=1
	;; [unrolled: 52-line block ×4, first 2 shown]
	s_or_b64 exec, exec, s[6:7]
	s_waitcnt lgkmcnt(0)
	s_barrier
	ds_read_b64 v[5:6], v7
	s_waitcnt lgkmcnt(0)
	v_add_f64 v[3:4], v[3:4], v[5:6]
	ds_write_b64 v7, v[3:4]
	s_waitcnt lgkmcnt(0)
	s_barrier
	ds_read_b32 v1, v8
	v_mov_b32_e32 v3, -1
	s_and_saveexec_b64 s[6:7], s[20:21]
; %bb.44:                               ;   in Loop: Header=BB6_3 Depth=1
	ds_read_b32 v3, v8 offset:4
; %bb.45:                               ;   in Loop: Header=BB6_3 Depth=1
	s_or_b64 exec, exec, s[6:7]
	s_waitcnt lgkmcnt(0)
	v_cmp_ne_u32_e32 vcc, v1, v3
	v_cmp_lt_i32_e64 s[6:7], -1, v1
	s_and_b64 s[36:37], s[6:7], vcc
	s_and_saveexec_b64 s[6:7], s[36:37]
	s_cbranch_execz .LBB6_2
; %bb.46:                               ;   in Loop: Header=BB6_3 Depth=1
	s_mov_b64 s[36:37], -1
	s_and_b64 vcc, exec, s[34:35]
	s_cbranch_vccz .LBB6_48
; %bb.47:                               ;   in Loop: Header=BB6_3 Depth=1
	v_mad_u64_u32 v[3:4], s[36:37], s30, v1, 0
	ds_read_b64 v[28:29], v7
	v_mad_u64_u32 v[4:5], s[36:37], s31, v1, v[4:5]
	v_mov_b32_e32 v5, s40
	s_mov_b64 s[36:37], 0
	v_lshlrev_b64 v[3:4], 3, v[3:4]
	v_add_co_u32_e32 v3, vcc, s39, v3
	v_addc_co_u32_e32 v4, vcc, v5, v4, vcc
	global_load_dwordx2 v[5:6], v[3:4], off
	s_waitcnt vmcnt(0) lgkmcnt(0)
	v_add_f64 v[5:6], v[5:6], v[28:29]
	global_store_dwordx2 v[3:4], v[5:6], off
.LBB6_48:                               ;   in Loop: Header=BB6_3 Depth=1
	s_andn2_b64 vcc, exec, s[36:37]
	s_cbranch_vccnz .LBB6_2
; %bb.49:                               ;   in Loop: Header=BB6_3 Depth=1
	v_lshlrev_b64 v[3:4], 3, v[1:2]
	v_mov_b32_e32 v1, s42
	v_add_co_u32_e32 v3, vcc, s41, v3
	v_addc_co_u32_e32 v4, vcc, v1, v4, vcc
	global_load_dwordx2 v[5:6], v[3:4], off
	ds_read_b64 v[28:29], v7
	s_waitcnt vmcnt(0) lgkmcnt(0)
	v_add_f64 v[5:6], v[5:6], v[28:29]
	global_store_dwordx2 v[3:4], v[5:6], off
	s_branch .LBB6_2
.LBB6_50:
	s_endpgm
	.section	.rodata,"a",@progbits
	.p2align	6, 0x0
	.amdhsa_kernel _ZN9rocsparseL28csrmmnn_general_block_reduceILj1024EiiddEEvT0_PKT1_PKT3_PT2_l16rocsparse_order_
		.amdhsa_group_segment_fixed_size 12288
		.amdhsa_private_segment_fixed_size 0
		.amdhsa_kernarg_size 44
		.amdhsa_user_sgpr_count 6
		.amdhsa_user_sgpr_private_segment_buffer 1
		.amdhsa_user_sgpr_dispatch_ptr 0
		.amdhsa_user_sgpr_queue_ptr 0
		.amdhsa_user_sgpr_kernarg_segment_ptr 1
		.amdhsa_user_sgpr_dispatch_id 0
		.amdhsa_user_sgpr_flat_scratch_init 0
		.amdhsa_user_sgpr_private_segment_size 0
		.amdhsa_uses_dynamic_stack 0
		.amdhsa_system_sgpr_private_segment_wavefront_offset 0
		.amdhsa_system_sgpr_workgroup_id_x 1
		.amdhsa_system_sgpr_workgroup_id_y 0
		.amdhsa_system_sgpr_workgroup_id_z 0
		.amdhsa_system_sgpr_workgroup_info 0
		.amdhsa_system_vgpr_workitem_id 0
		.amdhsa_next_free_vgpr 30
		.amdhsa_next_free_sgpr 61
		.amdhsa_reserve_vcc 1
		.amdhsa_reserve_flat_scratch 0
		.amdhsa_float_round_mode_32 0
		.amdhsa_float_round_mode_16_64 0
		.amdhsa_float_denorm_mode_32 3
		.amdhsa_float_denorm_mode_16_64 3
		.amdhsa_dx10_clamp 1
		.amdhsa_ieee_mode 1
		.amdhsa_fp16_overflow 0
		.amdhsa_exception_fp_ieee_invalid_op 0
		.amdhsa_exception_fp_denorm_src 0
		.amdhsa_exception_fp_ieee_div_zero 0
		.amdhsa_exception_fp_ieee_overflow 0
		.amdhsa_exception_fp_ieee_underflow 0
		.amdhsa_exception_fp_ieee_inexact 0
		.amdhsa_exception_int_div_zero 0
	.end_amdhsa_kernel
	.section	.text._ZN9rocsparseL28csrmmnn_general_block_reduceILj1024EiiddEEvT0_PKT1_PKT3_PT2_l16rocsparse_order_,"axG",@progbits,_ZN9rocsparseL28csrmmnn_general_block_reduceILj1024EiiddEEvT0_PKT1_PKT3_PT2_l16rocsparse_order_,comdat
.Lfunc_end6:
	.size	_ZN9rocsparseL28csrmmnn_general_block_reduceILj1024EiiddEEvT0_PKT1_PKT3_PT2_l16rocsparse_order_, .Lfunc_end6-_ZN9rocsparseL28csrmmnn_general_block_reduceILj1024EiiddEEvT0_PKT1_PKT3_PT2_l16rocsparse_order_
                                        ; -- End function
	.set _ZN9rocsparseL28csrmmnn_general_block_reduceILj1024EiiddEEvT0_PKT1_PKT3_PT2_l16rocsparse_order_.num_vgpr, 30
	.set _ZN9rocsparseL28csrmmnn_general_block_reduceILj1024EiiddEEvT0_PKT1_PKT3_PT2_l16rocsparse_order_.num_agpr, 0
	.set _ZN9rocsparseL28csrmmnn_general_block_reduceILj1024EiiddEEvT0_PKT1_PKT3_PT2_l16rocsparse_order_.numbered_sgpr, 43
	.set _ZN9rocsparseL28csrmmnn_general_block_reduceILj1024EiiddEEvT0_PKT1_PKT3_PT2_l16rocsparse_order_.num_named_barrier, 0
	.set _ZN9rocsparseL28csrmmnn_general_block_reduceILj1024EiiddEEvT0_PKT1_PKT3_PT2_l16rocsparse_order_.private_seg_size, 0
	.set _ZN9rocsparseL28csrmmnn_general_block_reduceILj1024EiiddEEvT0_PKT1_PKT3_PT2_l16rocsparse_order_.uses_vcc, 1
	.set _ZN9rocsparseL28csrmmnn_general_block_reduceILj1024EiiddEEvT0_PKT1_PKT3_PT2_l16rocsparse_order_.uses_flat_scratch, 0
	.set _ZN9rocsparseL28csrmmnn_general_block_reduceILj1024EiiddEEvT0_PKT1_PKT3_PT2_l16rocsparse_order_.has_dyn_sized_stack, 0
	.set _ZN9rocsparseL28csrmmnn_general_block_reduceILj1024EiiddEEvT0_PKT1_PKT3_PT2_l16rocsparse_order_.has_recursion, 0
	.set _ZN9rocsparseL28csrmmnn_general_block_reduceILj1024EiiddEEvT0_PKT1_PKT3_PT2_l16rocsparse_order_.has_indirect_call, 0
	.section	.AMDGPU.csdata,"",@progbits
; Kernel info:
; codeLenInByte = 1860
; TotalNumSgprs: 47
; NumVgprs: 30
; ScratchSize: 0
; MemoryBound: 0
; FloatMode: 240
; IeeeMode: 1
; LDSByteSize: 12288 bytes/workgroup (compile time only)
; SGPRBlocks: 8
; VGPRBlocks: 7
; NumSGPRsForWavesPerEU: 65
; NumVGPRsForWavesPerEU: 30
; Occupancy: 8
; WaveLimiterHint : 0
; COMPUTE_PGM_RSRC2:SCRATCH_EN: 0
; COMPUTE_PGM_RSRC2:USER_SGPR: 6
; COMPUTE_PGM_RSRC2:TRAP_HANDLER: 0
; COMPUTE_PGM_RSRC2:TGID_X_EN: 1
; COMPUTE_PGM_RSRC2:TGID_Y_EN: 0
; COMPUTE_PGM_RSRC2:TGID_Z_EN: 0
; COMPUTE_PGM_RSRC2:TIDIG_COMP_CNT: 0
	.section	.text._ZN9rocsparseL28csrmmnn_general_block_reduceILj1024EliddEEvT0_PKT1_PKT3_PT2_l16rocsparse_order_,"axG",@progbits,_ZN9rocsparseL28csrmmnn_general_block_reduceILj1024EliddEEvT0_PKT1_PKT3_PT2_l16rocsparse_order_,comdat
	.globl	_ZN9rocsparseL28csrmmnn_general_block_reduceILj1024EliddEEvT0_PKT1_PKT3_PT2_l16rocsparse_order_ ; -- Begin function _ZN9rocsparseL28csrmmnn_general_block_reduceILj1024EliddEEvT0_PKT1_PKT3_PT2_l16rocsparse_order_
	.p2align	8
	.type	_ZN9rocsparseL28csrmmnn_general_block_reduceILj1024EliddEEvT0_PKT1_PKT3_PT2_l16rocsparse_order_,@function
_ZN9rocsparseL28csrmmnn_general_block_reduceILj1024EliddEEvT0_PKT1_PKT3_PT2_l16rocsparse_order_: ; @_ZN9rocsparseL28csrmmnn_general_block_reduceILj1024EliddEEvT0_PKT1_PKT3_PT2_l16rocsparse_order_
; %bb.0:
	s_load_dwordx2 s[34:35], s[4:5], 0x0
	v_mov_b32_e32 v1, 0
	v_mov_b32_e32 v2, -1
	v_lshlrev_b32_e32 v10, 3, v0
	v_mov_b32_e32 v3, v2
	s_waitcnt lgkmcnt(0)
	v_cmp_gt_i64_e32 vcc, s[34:35], v[0:1]
	s_mov_b32 s7, 0
	v_mov_b32_e32 v4, v1
	v_mov_b32_e32 v5, v1
	ds_write2st64_b64 v10, v[2:3], v[4:5] offset1:16
	s_waitcnt lgkmcnt(0)
	s_barrier
	s_and_saveexec_b64 s[0:1], vcc
	s_cbranch_execz .LBB7_50
; %bb.1:
	s_load_dwordx8 s[24:31], s[4:5], 0x8
	s_load_dword s20, s[4:5], 0x28
	s_lshl_b64 s[2:3], s[6:7], 3
	s_movk_i32 s7, 0x7f
	v_cmp_lt_u32_e64 s[14:15], s7, v0
	s_waitcnt lgkmcnt(0)
	s_add_u32 s33, s28, s2
	s_movk_i32 s7, 0xff
	s_addc_u32 s38, s29, s3
	v_cmp_lt_u32_e64 s[16:17], s7, v0
	s_movk_i32 s7, 0x1ff
	v_cmp_lt_u32_e64 s[18:19], s7, v0
	s_cmp_lg_u32 s20, 1
	s_mul_i32 s7, s31, s6
	s_mul_hi_u32 s20, s30, s6
	s_cselect_b64 s[36:37], -1, 0
	s_add_i32 s21, s20, s7
	s_mul_i32 s20, s30, s6
	s_lshl_b64 s[20:21], s[20:21], 3
	s_add_u32 s28, s28, s20
	s_mul_i32 s7, s35, s6
	s_mul_hi_u32 s20, s34, s6
	s_addc_u32 s29, s29, s21
	s_add_i32 s7, s20, s7
	s_mul_i32 s6, s34, s6
	s_lshl_b64 s[6:7], s[6:7], 3
	s_add_u32 s6, s26, s6
	v_lshlrev_b32_e32 v2, 3, v0
	s_addc_u32 s7, s27, s7
	v_mov_b32_e32 v3, s7
	v_add_co_u32_e32 v2, vcc, s6, v2
	v_addc_co_u32_e32 v3, vcc, 0, v3, vcc
	v_lshlrev_b32_e32 v4, 2, v0
	v_or_b32_e32 v11, 0x2000, v10
	v_mov_b32_e32 v5, s25
	v_add_co_u32_e32 v4, vcc, s24, v4
	s_movk_i32 s6, 0x3ff
	v_cmp_ne_u32_e64 s[0:1], 0, v0
	v_cmp_lt_u32_e64 s[2:3], 1, v0
	v_add_u32_e32 v12, -16, v10
	v_add_u32_e32 v13, -16, v11
	v_cmp_lt_u32_e64 s[4:5], 3, v0
	v_subrev_u32_e32 v14, 32, v10
	v_subrev_u32_e32 v15, 32, v11
	v_cmp_lt_u32_e64 s[22:23], 7, v0
	v_subrev_u32_e32 v16, 64, v10
	v_subrev_u32_e32 v17, 64, v11
	v_cmp_lt_u32_e64 s[8:9], 15, v0
	v_add_u32_e32 v18, 0xffffff80, v10
	v_add_u32_e32 v19, 0xffffff80, v11
	v_cmp_lt_u32_e64 s[10:11], 31, v0
	v_add_u32_e32 v20, 0xffffff00, v10
	v_add_u32_e32 v21, 0xffffff00, v11
	;; [unrolled: 3-line block ×3, first 2 shown]
	v_add_u32_e32 v24, 0xfffffc00, v10
	v_add_u32_e32 v25, 0xfffffc00, v11
	;; [unrolled: 1-line block ×5, first 2 shown]
	v_addc_co_u32_e32 v5, vcc, 0, v5, vcc
	v_add_u32_e32 v29, 0xfffff000, v11
	v_cmp_ne_u32_e64 s[20:21], s6, v0
	s_mov_b64 s[24:25], 0
	s_branch .LBB7_3
.LBB7_2:                                ;   in Loop: Header=BB7_3 Depth=1
	s_or_b64 exec, exec, s[6:7]
	v_add_co_u32_e32 v0, vcc, 0x400, v0
	v_addc_co_u32_e32 v1, vcc, 0, v1, vcc
	v_add_co_u32_e32 v2, vcc, 0x2000, v2
	v_addc_co_u32_e32 v3, vcc, 0, v3, vcc
	v_cmp_le_i64_e64 s[6:7], s[34:35], v[0:1]
	v_add_co_u32_e32 v4, vcc, 0x1000, v4
	s_or_b64 s[24:25], s[6:7], s[24:25]
	v_addc_co_u32_e32 v5, vcc, 0, v5, vcc
	s_waitcnt vmcnt(0)
	s_barrier
	s_andn2_b64 exec, exec, s[24:25]
	s_cbranch_execz .LBB7_50
.LBB7_3:                                ; =>This Inner Loop Header: Depth=1
	global_load_dword v30, v[4:5], off
	global_load_dwordx2 v[32:33], v[2:3], off
	v_mov_b32_e32 v6, 0
	v_mov_b32_e32 v8, 0
	;; [unrolled: 1-line block ×4, first 2 shown]
	s_waitcnt vmcnt(1)
	v_ashrrev_i32_e32 v31, 31, v30
	s_waitcnt vmcnt(0)
	ds_write_b64 v11, v[32:33]
	ds_write_b64 v10, v[30:31]
	s_waitcnt lgkmcnt(0)
	s_barrier
	s_and_saveexec_b64 s[6:7], s[0:1]
	s_cbranch_execz .LBB7_7
; %bb.4:                                ;   in Loop: Header=BB7_3 Depth=1
	v_add_u32_e32 v8, -8, v10
	ds_read2_b64 v[30:33], v8 offset1:1
	v_mov_b32_e32 v8, 0
	v_mov_b32_e32 v9, 0
	s_waitcnt lgkmcnt(0)
	v_cmp_eq_u64_e32 vcc, v[32:33], v[30:31]
	s_and_saveexec_b64 s[26:27], vcc
; %bb.5:                                ;   in Loop: Header=BB7_3 Depth=1
	v_add_u32_e32 v8, -8, v11
	ds_read_b64 v[8:9], v8
; %bb.6:                                ;   in Loop: Header=BB7_3 Depth=1
	s_or_b64 exec, exec, s[26:27]
.LBB7_7:                                ;   in Loop: Header=BB7_3 Depth=1
	s_or_b64 exec, exec, s[6:7]
	s_waitcnt lgkmcnt(0)
	s_barrier
	ds_read_b64 v[30:31], v11
	s_waitcnt lgkmcnt(0)
	v_add_f64 v[8:9], v[8:9], v[30:31]
	ds_write_b64 v11, v[8:9]
	s_waitcnt lgkmcnt(0)
	s_barrier
	s_and_saveexec_b64 s[6:7], s[2:3]
	s_cbranch_execz .LBB7_11
; %bb.8:                                ;   in Loop: Header=BB7_3 Depth=1
	ds_read_b64 v[6:7], v10
	ds_read_b64 v[8:9], v12
	s_waitcnt lgkmcnt(0)
	v_cmp_eq_u64_e32 vcc, v[6:7], v[8:9]
	v_mov_b32_e32 v6, 0
	v_mov_b32_e32 v7, 0
	s_and_saveexec_b64 s[26:27], vcc
; %bb.9:                                ;   in Loop: Header=BB7_3 Depth=1
	ds_read_b64 v[6:7], v13
; %bb.10:                               ;   in Loop: Header=BB7_3 Depth=1
	s_or_b64 exec, exec, s[26:27]
.LBB7_11:                               ;   in Loop: Header=BB7_3 Depth=1
	s_or_b64 exec, exec, s[6:7]
	s_waitcnt lgkmcnt(0)
	s_barrier
	ds_read_b64 v[8:9], v11
	s_waitcnt lgkmcnt(0)
	v_add_f64 v[30:31], v[6:7], v[8:9]
	v_mov_b32_e32 v6, 0
	v_mov_b32_e32 v8, 0
	v_mov_b32_e32 v7, 0
	v_mov_b32_e32 v9, 0
	ds_write_b64 v11, v[30:31]
	s_waitcnt lgkmcnt(0)
	s_barrier
	s_and_saveexec_b64 s[6:7], s[4:5]
	s_cbranch_execz .LBB7_15
; %bb.12:                               ;   in Loop: Header=BB7_3 Depth=1
	ds_read_b64 v[8:9], v10
	ds_read_b64 v[30:31], v14
	s_waitcnt lgkmcnt(0)
	v_cmp_eq_u64_e32 vcc, v[8:9], v[30:31]
	v_mov_b32_e32 v8, 0
	v_mov_b32_e32 v9, 0
	s_and_saveexec_b64 s[26:27], vcc
; %bb.13:                               ;   in Loop: Header=BB7_3 Depth=1
	ds_read_b64 v[8:9], v15
; %bb.14:                               ;   in Loop: Header=BB7_3 Depth=1
	s_or_b64 exec, exec, s[26:27]
.LBB7_15:                               ;   in Loop: Header=BB7_3 Depth=1
	s_or_b64 exec, exec, s[6:7]
	s_waitcnt lgkmcnt(0)
	s_barrier
	ds_read_b64 v[30:31], v11
	s_waitcnt lgkmcnt(0)
	v_add_f64 v[8:9], v[8:9], v[30:31]
	ds_write_b64 v11, v[8:9]
	s_waitcnt lgkmcnt(0)
	s_barrier
	s_and_saveexec_b64 s[6:7], s[22:23]
	s_cbranch_execz .LBB7_19
; %bb.16:                               ;   in Loop: Header=BB7_3 Depth=1
	ds_read_b64 v[6:7], v10
	ds_read_b64 v[8:9], v16
	s_waitcnt lgkmcnt(0)
	v_cmp_eq_u64_e32 vcc, v[6:7], v[8:9]
	v_mov_b32_e32 v6, 0
	v_mov_b32_e32 v7, 0
	s_and_saveexec_b64 s[26:27], vcc
; %bb.17:                               ;   in Loop: Header=BB7_3 Depth=1
	ds_read_b64 v[6:7], v17
; %bb.18:                               ;   in Loop: Header=BB7_3 Depth=1
	s_or_b64 exec, exec, s[26:27]
.LBB7_19:                               ;   in Loop: Header=BB7_3 Depth=1
	s_or_b64 exec, exec, s[6:7]
	s_waitcnt lgkmcnt(0)
	s_barrier
	ds_read_b64 v[8:9], v11
	s_waitcnt lgkmcnt(0)
	v_add_f64 v[30:31], v[6:7], v[8:9]
	v_mov_b32_e32 v6, 0
	v_mov_b32_e32 v8, 0
	v_mov_b32_e32 v7, 0
	v_mov_b32_e32 v9, 0
	ds_write_b64 v11, v[30:31]
	s_waitcnt lgkmcnt(0)
	s_barrier
	s_and_saveexec_b64 s[6:7], s[8:9]
	s_cbranch_execz .LBB7_23
; %bb.20:                               ;   in Loop: Header=BB7_3 Depth=1
	ds_read_b64 v[8:9], v10
	ds_read_b64 v[30:31], v18
	s_waitcnt lgkmcnt(0)
	v_cmp_eq_u64_e32 vcc, v[8:9], v[30:31]
	v_mov_b32_e32 v8, 0
	v_mov_b32_e32 v9, 0
	s_and_saveexec_b64 s[26:27], vcc
; %bb.21:                               ;   in Loop: Header=BB7_3 Depth=1
	ds_read_b64 v[8:9], v19
; %bb.22:                               ;   in Loop: Header=BB7_3 Depth=1
	s_or_b64 exec, exec, s[26:27]
.LBB7_23:                               ;   in Loop: Header=BB7_3 Depth=1
	s_or_b64 exec, exec, s[6:7]
	s_waitcnt lgkmcnt(0)
	s_barrier
	ds_read_b64 v[30:31], v11
	s_waitcnt lgkmcnt(0)
	v_add_f64 v[8:9], v[8:9], v[30:31]
	ds_write_b64 v11, v[8:9]
	s_waitcnt lgkmcnt(0)
	s_barrier
	s_and_saveexec_b64 s[6:7], s[10:11]
	s_cbranch_execz .LBB7_27
; %bb.24:                               ;   in Loop: Header=BB7_3 Depth=1
	ds_read_b64 v[6:7], v10
	ds_read_b64 v[8:9], v20
	s_waitcnt lgkmcnt(0)
	v_cmp_eq_u64_e32 vcc, v[6:7], v[8:9]
	v_mov_b32_e32 v6, 0
	v_mov_b32_e32 v7, 0
	s_and_saveexec_b64 s[26:27], vcc
; %bb.25:                               ;   in Loop: Header=BB7_3 Depth=1
	ds_read_b64 v[6:7], v21
; %bb.26:                               ;   in Loop: Header=BB7_3 Depth=1
	s_or_b64 exec, exec, s[26:27]
.LBB7_27:                               ;   in Loop: Header=BB7_3 Depth=1
	;; [unrolled: 52-line block ×4, first 2 shown]
	s_or_b64 exec, exec, s[6:7]
	s_waitcnt lgkmcnt(0)
	s_barrier
	ds_read_b64 v[8:9], v11
	s_waitcnt lgkmcnt(0)
	v_add_f64 v[6:7], v[6:7], v[8:9]
	v_mov_b32_e32 v8, -1
	v_mov_b32_e32 v9, -1
	ds_write_b64 v11, v[6:7]
	s_waitcnt lgkmcnt(0)
	s_barrier
	ds_read_b64 v[6:7], v10
	s_and_saveexec_b64 s[6:7], s[20:21]
; %bb.44:                               ;   in Loop: Header=BB7_3 Depth=1
	ds_read_b64 v[8:9], v10 offset:8
; %bb.45:                               ;   in Loop: Header=BB7_3 Depth=1
	s_or_b64 exec, exec, s[6:7]
	s_waitcnt lgkmcnt(0)
	v_cmp_ne_u64_e32 vcc, v[6:7], v[8:9]
	v_cmp_lt_i64_e64 s[6:7], -1, v[6:7]
	s_and_b64 s[26:27], s[6:7], vcc
	s_and_saveexec_b64 s[6:7], s[26:27]
	s_cbranch_execz .LBB7_2
; %bb.46:                               ;   in Loop: Header=BB7_3 Depth=1
	s_mov_b64 s[26:27], -1
	s_and_b64 vcc, exec, s[36:37]
	s_cbranch_vccz .LBB7_48
; %bb.47:                               ;   in Loop: Header=BB7_3 Depth=1
	v_mul_lo_u32 v30, v7, s30
	v_mul_lo_u32 v31, v6, s31
	v_mad_u64_u32 v[8:9], s[26:27], v6, s30, 0
	ds_read_b64 v[32:33], v11
	s_mov_b64 s[26:27], 0
	v_add3_u32 v9, v9, v31, v30
	v_lshlrev_b64 v[8:9], 3, v[8:9]
	v_mov_b32_e32 v30, s38
	v_add_co_u32_e32 v8, vcc, s33, v8
	v_addc_co_u32_e32 v9, vcc, v30, v9, vcc
	global_load_dwordx2 v[30:31], v[8:9], off
	s_waitcnt vmcnt(0) lgkmcnt(0)
	v_add_f64 v[30:31], v[30:31], v[32:33]
	global_store_dwordx2 v[8:9], v[30:31], off
.LBB7_48:                               ;   in Loop: Header=BB7_3 Depth=1
	s_andn2_b64 vcc, exec, s[26:27]
	s_cbranch_vccnz .LBB7_2
; %bb.49:                               ;   in Loop: Header=BB7_3 Depth=1
	v_lshlrev_b64 v[6:7], 3, v[6:7]
	v_mov_b32_e32 v8, s29
	v_add_co_u32_e32 v6, vcc, s28, v6
	v_addc_co_u32_e32 v7, vcc, v8, v7, vcc
	global_load_dwordx2 v[8:9], v[6:7], off
	ds_read_b64 v[30:31], v11
	s_waitcnt vmcnt(0) lgkmcnt(0)
	v_add_f64 v[8:9], v[8:9], v[30:31]
	global_store_dwordx2 v[6:7], v[8:9], off
	s_branch .LBB7_2
.LBB7_50:
	s_endpgm
	.section	.rodata,"a",@progbits
	.p2align	6, 0x0
	.amdhsa_kernel _ZN9rocsparseL28csrmmnn_general_block_reduceILj1024EliddEEvT0_PKT1_PKT3_PT2_l16rocsparse_order_
		.amdhsa_group_segment_fixed_size 16384
		.amdhsa_private_segment_fixed_size 0
		.amdhsa_kernarg_size 44
		.amdhsa_user_sgpr_count 6
		.amdhsa_user_sgpr_private_segment_buffer 1
		.amdhsa_user_sgpr_dispatch_ptr 0
		.amdhsa_user_sgpr_queue_ptr 0
		.amdhsa_user_sgpr_kernarg_segment_ptr 1
		.amdhsa_user_sgpr_dispatch_id 0
		.amdhsa_user_sgpr_flat_scratch_init 0
		.amdhsa_user_sgpr_private_segment_size 0
		.amdhsa_uses_dynamic_stack 0
		.amdhsa_system_sgpr_private_segment_wavefront_offset 0
		.amdhsa_system_sgpr_workgroup_id_x 1
		.amdhsa_system_sgpr_workgroup_id_y 0
		.amdhsa_system_sgpr_workgroup_id_z 0
		.amdhsa_system_sgpr_workgroup_info 0
		.amdhsa_system_vgpr_workitem_id 0
		.amdhsa_next_free_vgpr 34
		.amdhsa_next_free_sgpr 61
		.amdhsa_reserve_vcc 1
		.amdhsa_reserve_flat_scratch 0
		.amdhsa_float_round_mode_32 0
		.amdhsa_float_round_mode_16_64 0
		.amdhsa_float_denorm_mode_32 3
		.amdhsa_float_denorm_mode_16_64 3
		.amdhsa_dx10_clamp 1
		.amdhsa_ieee_mode 1
		.amdhsa_fp16_overflow 0
		.amdhsa_exception_fp_ieee_invalid_op 0
		.amdhsa_exception_fp_denorm_src 0
		.amdhsa_exception_fp_ieee_div_zero 0
		.amdhsa_exception_fp_ieee_overflow 0
		.amdhsa_exception_fp_ieee_underflow 0
		.amdhsa_exception_fp_ieee_inexact 0
		.amdhsa_exception_int_div_zero 0
	.end_amdhsa_kernel
	.section	.text._ZN9rocsparseL28csrmmnn_general_block_reduceILj1024EliddEEvT0_PKT1_PKT3_PT2_l16rocsparse_order_,"axG",@progbits,_ZN9rocsparseL28csrmmnn_general_block_reduceILj1024EliddEEvT0_PKT1_PKT3_PT2_l16rocsparse_order_,comdat
.Lfunc_end7:
	.size	_ZN9rocsparseL28csrmmnn_general_block_reduceILj1024EliddEEvT0_PKT1_PKT3_PT2_l16rocsparse_order_, .Lfunc_end7-_ZN9rocsparseL28csrmmnn_general_block_reduceILj1024EliddEEvT0_PKT1_PKT3_PT2_l16rocsparse_order_
                                        ; -- End function
	.set _ZN9rocsparseL28csrmmnn_general_block_reduceILj1024EliddEEvT0_PKT1_PKT3_PT2_l16rocsparse_order_.num_vgpr, 34
	.set _ZN9rocsparseL28csrmmnn_general_block_reduceILj1024EliddEEvT0_PKT1_PKT3_PT2_l16rocsparse_order_.num_agpr, 0
	.set _ZN9rocsparseL28csrmmnn_general_block_reduceILj1024EliddEEvT0_PKT1_PKT3_PT2_l16rocsparse_order_.numbered_sgpr, 39
	.set _ZN9rocsparseL28csrmmnn_general_block_reduceILj1024EliddEEvT0_PKT1_PKT3_PT2_l16rocsparse_order_.num_named_barrier, 0
	.set _ZN9rocsparseL28csrmmnn_general_block_reduceILj1024EliddEEvT0_PKT1_PKT3_PT2_l16rocsparse_order_.private_seg_size, 0
	.set _ZN9rocsparseL28csrmmnn_general_block_reduceILj1024EliddEEvT0_PKT1_PKT3_PT2_l16rocsparse_order_.uses_vcc, 1
	.set _ZN9rocsparseL28csrmmnn_general_block_reduceILj1024EliddEEvT0_PKT1_PKT3_PT2_l16rocsparse_order_.uses_flat_scratch, 0
	.set _ZN9rocsparseL28csrmmnn_general_block_reduceILj1024EliddEEvT0_PKT1_PKT3_PT2_l16rocsparse_order_.has_dyn_sized_stack, 0
	.set _ZN9rocsparseL28csrmmnn_general_block_reduceILj1024EliddEEvT0_PKT1_PKT3_PT2_l16rocsparse_order_.has_recursion, 0
	.set _ZN9rocsparseL28csrmmnn_general_block_reduceILj1024EliddEEvT0_PKT1_PKT3_PT2_l16rocsparse_order_.has_indirect_call, 0
	.section	.AMDGPU.csdata,"",@progbits
; Kernel info:
; codeLenInByte = 1912
; TotalNumSgprs: 43
; NumVgprs: 34
; ScratchSize: 0
; MemoryBound: 0
; FloatMode: 240
; IeeeMode: 1
; LDSByteSize: 16384 bytes/workgroup (compile time only)
; SGPRBlocks: 8
; VGPRBlocks: 8
; NumSGPRsForWavesPerEU: 65
; NumVGPRsForWavesPerEU: 34
; Occupancy: 7
; WaveLimiterHint : 0
; COMPUTE_PGM_RSRC2:SCRATCH_EN: 0
; COMPUTE_PGM_RSRC2:USER_SGPR: 6
; COMPUTE_PGM_RSRC2:TRAP_HANDLER: 0
; COMPUTE_PGM_RSRC2:TGID_X_EN: 1
; COMPUTE_PGM_RSRC2:TGID_Y_EN: 0
; COMPUTE_PGM_RSRC2:TGID_Z_EN: 0
; COMPUTE_PGM_RSRC2:TIDIG_COMP_CNT: 0
	.section	.text._ZN9rocsparseL28csrmmnn_general_block_reduceILj1024EllddEEvT0_PKT1_PKT3_PT2_l16rocsparse_order_,"axG",@progbits,_ZN9rocsparseL28csrmmnn_general_block_reduceILj1024EllddEEvT0_PKT1_PKT3_PT2_l16rocsparse_order_,comdat
	.globl	_ZN9rocsparseL28csrmmnn_general_block_reduceILj1024EllddEEvT0_PKT1_PKT3_PT2_l16rocsparse_order_ ; -- Begin function _ZN9rocsparseL28csrmmnn_general_block_reduceILj1024EllddEEvT0_PKT1_PKT3_PT2_l16rocsparse_order_
	.p2align	8
	.type	_ZN9rocsparseL28csrmmnn_general_block_reduceILj1024EllddEEvT0_PKT1_PKT3_PT2_l16rocsparse_order_,@function
_ZN9rocsparseL28csrmmnn_general_block_reduceILj1024EllddEEvT0_PKT1_PKT3_PT2_l16rocsparse_order_: ; @_ZN9rocsparseL28csrmmnn_general_block_reduceILj1024EllddEEvT0_PKT1_PKT3_PT2_l16rocsparse_order_
; %bb.0:
	s_load_dwordx2 s[34:35], s[4:5], 0x0
	v_mov_b32_e32 v1, 0
	v_mov_b32_e32 v2, -1
	v_lshlrev_b32_e32 v10, 3, v0
	v_mov_b32_e32 v3, v2
	s_waitcnt lgkmcnt(0)
	v_cmp_gt_i64_e32 vcc, s[34:35], v[0:1]
	s_mov_b32 s7, 0
	v_mov_b32_e32 v4, v1
	v_mov_b32_e32 v5, v1
	ds_write2st64_b64 v10, v[2:3], v[4:5] offset1:16
	s_waitcnt lgkmcnt(0)
	s_barrier
	s_and_saveexec_b64 s[0:1], vcc
	s_cbranch_execz .LBB8_50
; %bb.1:
	s_load_dwordx8 s[24:31], s[4:5], 0x8
	s_load_dword s20, s[4:5], 0x28
	s_lshl_b64 s[2:3], s[6:7], 3
	s_movk_i32 s7, 0x7f
	v_cmp_lt_u32_e64 s[14:15], s7, v0
	s_waitcnt lgkmcnt(0)
	s_add_u32 s33, s28, s2
	s_movk_i32 s7, 0xff
	s_addc_u32 s38, s29, s3
	v_cmp_lt_u32_e64 s[16:17], s7, v0
	s_movk_i32 s7, 0x1ff
	v_cmp_lt_u32_e64 s[18:19], s7, v0
	s_cmp_lg_u32 s20, 1
	s_mul_i32 s7, s31, s6
	s_mul_hi_u32 s20, s30, s6
	s_cselect_b64 s[36:37], -1, 0
	s_add_i32 s21, s20, s7
	s_mul_i32 s20, s30, s6
	s_lshl_b64 s[20:21], s[20:21], 3
	s_add_u32 s28, s28, s20
	s_mul_i32 s7, s35, s6
	s_mul_hi_u32 s20, s34, s6
	s_addc_u32 s29, s29, s21
	s_add_i32 s7, s20, s7
	s_mul_i32 s6, s34, s6
	s_lshl_b64 s[6:7], s[6:7], 3
	s_add_u32 s6, s26, s6
	v_lshlrev_b32_e32 v4, 3, v0
	s_addc_u32 s7, s27, s7
	v_mov_b32_e32 v3, s7
	v_add_co_u32_e32 v2, vcc, s6, v4
	v_addc_co_u32_e32 v3, vcc, 0, v3, vcc
	v_or_b32_e32 v11, 0x2000, v10
	v_mov_b32_e32 v5, s25
	v_add_co_u32_e32 v4, vcc, s24, v4
	s_movk_i32 s6, 0x3ff
	v_cmp_ne_u32_e64 s[0:1], 0, v0
	v_cmp_lt_u32_e64 s[2:3], 1, v0
	v_add_u32_e32 v12, -16, v10
	v_add_u32_e32 v13, -16, v11
	v_cmp_lt_u32_e64 s[4:5], 3, v0
	v_subrev_u32_e32 v14, 32, v10
	v_subrev_u32_e32 v15, 32, v11
	v_cmp_lt_u32_e64 s[22:23], 7, v0
	v_subrev_u32_e32 v16, 64, v10
	v_subrev_u32_e32 v17, 64, v11
	v_cmp_lt_u32_e64 s[8:9], 15, v0
	v_add_u32_e32 v18, 0xffffff80, v10
	v_add_u32_e32 v19, 0xffffff80, v11
	v_cmp_lt_u32_e64 s[10:11], 31, v0
	v_add_u32_e32 v20, 0xffffff00, v10
	v_add_u32_e32 v21, 0xffffff00, v11
	;; [unrolled: 3-line block ×3, first 2 shown]
	v_add_u32_e32 v24, 0xfffffc00, v10
	v_add_u32_e32 v25, 0xfffffc00, v11
	;; [unrolled: 1-line block ×5, first 2 shown]
	v_addc_co_u32_e32 v5, vcc, 0, v5, vcc
	v_add_u32_e32 v29, 0xfffff000, v11
	v_cmp_ne_u32_e64 s[20:21], s6, v0
	s_mov_b64 s[24:25], 0
	s_branch .LBB8_3
.LBB8_2:                                ;   in Loop: Header=BB8_3 Depth=1
	s_or_b64 exec, exec, s[6:7]
	v_add_co_u32_e32 v0, vcc, 0x400, v0
	v_addc_co_u32_e32 v1, vcc, 0, v1, vcc
	v_add_co_u32_e32 v2, vcc, 0x2000, v2
	v_addc_co_u32_e32 v3, vcc, 0, v3, vcc
	v_cmp_le_i64_e64 s[6:7], s[34:35], v[0:1]
	v_add_co_u32_e32 v4, vcc, 0x2000, v4
	s_or_b64 s[24:25], s[6:7], s[24:25]
	v_addc_co_u32_e32 v5, vcc, 0, v5, vcc
	s_waitcnt vmcnt(0)
	s_barrier
	s_andn2_b64 exec, exec, s[24:25]
	s_cbranch_execz .LBB8_50
.LBB8_3:                                ; =>This Inner Loop Header: Depth=1
	global_load_dwordx2 v[30:31], v[4:5], off
	global_load_dwordx2 v[32:33], v[2:3], off
	v_mov_b32_e32 v6, 0
	v_mov_b32_e32 v8, 0
	;; [unrolled: 1-line block ×4, first 2 shown]
	s_waitcnt vmcnt(1)
	ds_write_b64 v10, v[30:31]
	s_waitcnt vmcnt(0)
	ds_write_b64 v11, v[32:33]
	s_waitcnt lgkmcnt(0)
	s_barrier
	s_and_saveexec_b64 s[6:7], s[0:1]
	s_cbranch_execz .LBB8_7
; %bb.4:                                ;   in Loop: Header=BB8_3 Depth=1
	v_add_u32_e32 v8, -8, v10
	ds_read2_b64 v[30:33], v8 offset1:1
	v_mov_b32_e32 v8, 0
	v_mov_b32_e32 v9, 0
	s_waitcnt lgkmcnt(0)
	v_cmp_eq_u64_e32 vcc, v[32:33], v[30:31]
	s_and_saveexec_b64 s[26:27], vcc
; %bb.5:                                ;   in Loop: Header=BB8_3 Depth=1
	v_add_u32_e32 v8, -8, v11
	ds_read_b64 v[8:9], v8
; %bb.6:                                ;   in Loop: Header=BB8_3 Depth=1
	s_or_b64 exec, exec, s[26:27]
.LBB8_7:                                ;   in Loop: Header=BB8_3 Depth=1
	s_or_b64 exec, exec, s[6:7]
	s_waitcnt lgkmcnt(0)
	s_barrier
	ds_read_b64 v[30:31], v11
	s_waitcnt lgkmcnt(0)
	v_add_f64 v[8:9], v[8:9], v[30:31]
	ds_write_b64 v11, v[8:9]
	s_waitcnt lgkmcnt(0)
	s_barrier
	s_and_saveexec_b64 s[6:7], s[2:3]
	s_cbranch_execz .LBB8_11
; %bb.8:                                ;   in Loop: Header=BB8_3 Depth=1
	ds_read_b64 v[6:7], v10
	ds_read_b64 v[8:9], v12
	s_waitcnt lgkmcnt(0)
	v_cmp_eq_u64_e32 vcc, v[6:7], v[8:9]
	v_mov_b32_e32 v6, 0
	v_mov_b32_e32 v7, 0
	s_and_saveexec_b64 s[26:27], vcc
; %bb.9:                                ;   in Loop: Header=BB8_3 Depth=1
	ds_read_b64 v[6:7], v13
; %bb.10:                               ;   in Loop: Header=BB8_3 Depth=1
	s_or_b64 exec, exec, s[26:27]
.LBB8_11:                               ;   in Loop: Header=BB8_3 Depth=1
	s_or_b64 exec, exec, s[6:7]
	s_waitcnt lgkmcnt(0)
	s_barrier
	ds_read_b64 v[8:9], v11
	s_waitcnt lgkmcnt(0)
	v_add_f64 v[30:31], v[6:7], v[8:9]
	v_mov_b32_e32 v6, 0
	v_mov_b32_e32 v8, 0
	v_mov_b32_e32 v7, 0
	v_mov_b32_e32 v9, 0
	ds_write_b64 v11, v[30:31]
	s_waitcnt lgkmcnt(0)
	s_barrier
	s_and_saveexec_b64 s[6:7], s[4:5]
	s_cbranch_execz .LBB8_15
; %bb.12:                               ;   in Loop: Header=BB8_3 Depth=1
	ds_read_b64 v[8:9], v10
	ds_read_b64 v[30:31], v14
	s_waitcnt lgkmcnt(0)
	v_cmp_eq_u64_e32 vcc, v[8:9], v[30:31]
	v_mov_b32_e32 v8, 0
	v_mov_b32_e32 v9, 0
	s_and_saveexec_b64 s[26:27], vcc
; %bb.13:                               ;   in Loop: Header=BB8_3 Depth=1
	ds_read_b64 v[8:9], v15
; %bb.14:                               ;   in Loop: Header=BB8_3 Depth=1
	s_or_b64 exec, exec, s[26:27]
.LBB8_15:                               ;   in Loop: Header=BB8_3 Depth=1
	s_or_b64 exec, exec, s[6:7]
	s_waitcnt lgkmcnt(0)
	s_barrier
	ds_read_b64 v[30:31], v11
	s_waitcnt lgkmcnt(0)
	v_add_f64 v[8:9], v[8:9], v[30:31]
	ds_write_b64 v11, v[8:9]
	s_waitcnt lgkmcnt(0)
	s_barrier
	s_and_saveexec_b64 s[6:7], s[22:23]
	s_cbranch_execz .LBB8_19
; %bb.16:                               ;   in Loop: Header=BB8_3 Depth=1
	ds_read_b64 v[6:7], v10
	ds_read_b64 v[8:9], v16
	s_waitcnt lgkmcnt(0)
	v_cmp_eq_u64_e32 vcc, v[6:7], v[8:9]
	v_mov_b32_e32 v6, 0
	v_mov_b32_e32 v7, 0
	s_and_saveexec_b64 s[26:27], vcc
; %bb.17:                               ;   in Loop: Header=BB8_3 Depth=1
	ds_read_b64 v[6:7], v17
; %bb.18:                               ;   in Loop: Header=BB8_3 Depth=1
	s_or_b64 exec, exec, s[26:27]
.LBB8_19:                               ;   in Loop: Header=BB8_3 Depth=1
	s_or_b64 exec, exec, s[6:7]
	s_waitcnt lgkmcnt(0)
	s_barrier
	ds_read_b64 v[8:9], v11
	s_waitcnt lgkmcnt(0)
	v_add_f64 v[30:31], v[6:7], v[8:9]
	v_mov_b32_e32 v6, 0
	v_mov_b32_e32 v8, 0
	v_mov_b32_e32 v7, 0
	v_mov_b32_e32 v9, 0
	ds_write_b64 v11, v[30:31]
	s_waitcnt lgkmcnt(0)
	s_barrier
	s_and_saveexec_b64 s[6:7], s[8:9]
	s_cbranch_execz .LBB8_23
; %bb.20:                               ;   in Loop: Header=BB8_3 Depth=1
	ds_read_b64 v[8:9], v10
	ds_read_b64 v[30:31], v18
	s_waitcnt lgkmcnt(0)
	v_cmp_eq_u64_e32 vcc, v[8:9], v[30:31]
	v_mov_b32_e32 v8, 0
	v_mov_b32_e32 v9, 0
	s_and_saveexec_b64 s[26:27], vcc
; %bb.21:                               ;   in Loop: Header=BB8_3 Depth=1
	ds_read_b64 v[8:9], v19
; %bb.22:                               ;   in Loop: Header=BB8_3 Depth=1
	s_or_b64 exec, exec, s[26:27]
.LBB8_23:                               ;   in Loop: Header=BB8_3 Depth=1
	s_or_b64 exec, exec, s[6:7]
	s_waitcnt lgkmcnt(0)
	s_barrier
	ds_read_b64 v[30:31], v11
	s_waitcnt lgkmcnt(0)
	v_add_f64 v[8:9], v[8:9], v[30:31]
	ds_write_b64 v11, v[8:9]
	s_waitcnt lgkmcnt(0)
	s_barrier
	s_and_saveexec_b64 s[6:7], s[10:11]
	s_cbranch_execz .LBB8_27
; %bb.24:                               ;   in Loop: Header=BB8_3 Depth=1
	ds_read_b64 v[6:7], v10
	ds_read_b64 v[8:9], v20
	s_waitcnt lgkmcnt(0)
	v_cmp_eq_u64_e32 vcc, v[6:7], v[8:9]
	v_mov_b32_e32 v6, 0
	v_mov_b32_e32 v7, 0
	s_and_saveexec_b64 s[26:27], vcc
; %bb.25:                               ;   in Loop: Header=BB8_3 Depth=1
	ds_read_b64 v[6:7], v21
; %bb.26:                               ;   in Loop: Header=BB8_3 Depth=1
	s_or_b64 exec, exec, s[26:27]
.LBB8_27:                               ;   in Loop: Header=BB8_3 Depth=1
	;; [unrolled: 52-line block ×4, first 2 shown]
	s_or_b64 exec, exec, s[6:7]
	s_waitcnt lgkmcnt(0)
	s_barrier
	ds_read_b64 v[8:9], v11
	s_waitcnt lgkmcnt(0)
	v_add_f64 v[6:7], v[6:7], v[8:9]
	v_mov_b32_e32 v8, -1
	v_mov_b32_e32 v9, -1
	ds_write_b64 v11, v[6:7]
	s_waitcnt lgkmcnt(0)
	s_barrier
	ds_read_b64 v[6:7], v10
	s_and_saveexec_b64 s[6:7], s[20:21]
; %bb.44:                               ;   in Loop: Header=BB8_3 Depth=1
	ds_read_b64 v[8:9], v10 offset:8
; %bb.45:                               ;   in Loop: Header=BB8_3 Depth=1
	s_or_b64 exec, exec, s[6:7]
	s_waitcnt lgkmcnt(0)
	v_cmp_ne_u64_e32 vcc, v[6:7], v[8:9]
	v_cmp_lt_i64_e64 s[6:7], -1, v[6:7]
	s_and_b64 s[26:27], s[6:7], vcc
	s_and_saveexec_b64 s[6:7], s[26:27]
	s_cbranch_execz .LBB8_2
; %bb.46:                               ;   in Loop: Header=BB8_3 Depth=1
	s_mov_b64 s[26:27], -1
	s_and_b64 vcc, exec, s[36:37]
	s_cbranch_vccz .LBB8_48
; %bb.47:                               ;   in Loop: Header=BB8_3 Depth=1
	v_mul_lo_u32 v30, v7, s30
	v_mul_lo_u32 v31, v6, s31
	v_mad_u64_u32 v[8:9], s[26:27], v6, s30, 0
	ds_read_b64 v[32:33], v11
	s_mov_b64 s[26:27], 0
	v_add3_u32 v9, v9, v31, v30
	v_lshlrev_b64 v[8:9], 3, v[8:9]
	v_mov_b32_e32 v30, s38
	v_add_co_u32_e32 v8, vcc, s33, v8
	v_addc_co_u32_e32 v9, vcc, v30, v9, vcc
	global_load_dwordx2 v[30:31], v[8:9], off
	s_waitcnt vmcnt(0) lgkmcnt(0)
	v_add_f64 v[30:31], v[30:31], v[32:33]
	global_store_dwordx2 v[8:9], v[30:31], off
.LBB8_48:                               ;   in Loop: Header=BB8_3 Depth=1
	s_andn2_b64 vcc, exec, s[26:27]
	s_cbranch_vccnz .LBB8_2
; %bb.49:                               ;   in Loop: Header=BB8_3 Depth=1
	v_lshlrev_b64 v[6:7], 3, v[6:7]
	v_mov_b32_e32 v8, s29
	v_add_co_u32_e32 v6, vcc, s28, v6
	v_addc_co_u32_e32 v7, vcc, v8, v7, vcc
	global_load_dwordx2 v[8:9], v[6:7], off
	ds_read_b64 v[30:31], v11
	s_waitcnt vmcnt(0) lgkmcnt(0)
	v_add_f64 v[8:9], v[8:9], v[30:31]
	global_store_dwordx2 v[6:7], v[8:9], off
	s_branch .LBB8_2
.LBB8_50:
	s_endpgm
	.section	.rodata,"a",@progbits
	.p2align	6, 0x0
	.amdhsa_kernel _ZN9rocsparseL28csrmmnn_general_block_reduceILj1024EllddEEvT0_PKT1_PKT3_PT2_l16rocsparse_order_
		.amdhsa_group_segment_fixed_size 16384
		.amdhsa_private_segment_fixed_size 0
		.amdhsa_kernarg_size 44
		.amdhsa_user_sgpr_count 6
		.amdhsa_user_sgpr_private_segment_buffer 1
		.amdhsa_user_sgpr_dispatch_ptr 0
		.amdhsa_user_sgpr_queue_ptr 0
		.amdhsa_user_sgpr_kernarg_segment_ptr 1
		.amdhsa_user_sgpr_dispatch_id 0
		.amdhsa_user_sgpr_flat_scratch_init 0
		.amdhsa_user_sgpr_private_segment_size 0
		.amdhsa_uses_dynamic_stack 0
		.amdhsa_system_sgpr_private_segment_wavefront_offset 0
		.amdhsa_system_sgpr_workgroup_id_x 1
		.amdhsa_system_sgpr_workgroup_id_y 0
		.amdhsa_system_sgpr_workgroup_id_z 0
		.amdhsa_system_sgpr_workgroup_info 0
		.amdhsa_system_vgpr_workitem_id 0
		.amdhsa_next_free_vgpr 34
		.amdhsa_next_free_sgpr 61
		.amdhsa_reserve_vcc 1
		.amdhsa_reserve_flat_scratch 0
		.amdhsa_float_round_mode_32 0
		.amdhsa_float_round_mode_16_64 0
		.amdhsa_float_denorm_mode_32 3
		.amdhsa_float_denorm_mode_16_64 3
		.amdhsa_dx10_clamp 1
		.amdhsa_ieee_mode 1
		.amdhsa_fp16_overflow 0
		.amdhsa_exception_fp_ieee_invalid_op 0
		.amdhsa_exception_fp_denorm_src 0
		.amdhsa_exception_fp_ieee_div_zero 0
		.amdhsa_exception_fp_ieee_overflow 0
		.amdhsa_exception_fp_ieee_underflow 0
		.amdhsa_exception_fp_ieee_inexact 0
		.amdhsa_exception_int_div_zero 0
	.end_amdhsa_kernel
	.section	.text._ZN9rocsparseL28csrmmnn_general_block_reduceILj1024EllddEEvT0_PKT1_PKT3_PT2_l16rocsparse_order_,"axG",@progbits,_ZN9rocsparseL28csrmmnn_general_block_reduceILj1024EllddEEvT0_PKT1_PKT3_PT2_l16rocsparse_order_,comdat
.Lfunc_end8:
	.size	_ZN9rocsparseL28csrmmnn_general_block_reduceILj1024EllddEEvT0_PKT1_PKT3_PT2_l16rocsparse_order_, .Lfunc_end8-_ZN9rocsparseL28csrmmnn_general_block_reduceILj1024EllddEEvT0_PKT1_PKT3_PT2_l16rocsparse_order_
                                        ; -- End function
	.set _ZN9rocsparseL28csrmmnn_general_block_reduceILj1024EllddEEvT0_PKT1_PKT3_PT2_l16rocsparse_order_.num_vgpr, 34
	.set _ZN9rocsparseL28csrmmnn_general_block_reduceILj1024EllddEEvT0_PKT1_PKT3_PT2_l16rocsparse_order_.num_agpr, 0
	.set _ZN9rocsparseL28csrmmnn_general_block_reduceILj1024EllddEEvT0_PKT1_PKT3_PT2_l16rocsparse_order_.numbered_sgpr, 39
	.set _ZN9rocsparseL28csrmmnn_general_block_reduceILj1024EllddEEvT0_PKT1_PKT3_PT2_l16rocsparse_order_.num_named_barrier, 0
	.set _ZN9rocsparseL28csrmmnn_general_block_reduceILj1024EllddEEvT0_PKT1_PKT3_PT2_l16rocsparse_order_.private_seg_size, 0
	.set _ZN9rocsparseL28csrmmnn_general_block_reduceILj1024EllddEEvT0_PKT1_PKT3_PT2_l16rocsparse_order_.uses_vcc, 1
	.set _ZN9rocsparseL28csrmmnn_general_block_reduceILj1024EllddEEvT0_PKT1_PKT3_PT2_l16rocsparse_order_.uses_flat_scratch, 0
	.set _ZN9rocsparseL28csrmmnn_general_block_reduceILj1024EllddEEvT0_PKT1_PKT3_PT2_l16rocsparse_order_.has_dyn_sized_stack, 0
	.set _ZN9rocsparseL28csrmmnn_general_block_reduceILj1024EllddEEvT0_PKT1_PKT3_PT2_l16rocsparse_order_.has_recursion, 0
	.set _ZN9rocsparseL28csrmmnn_general_block_reduceILj1024EllddEEvT0_PKT1_PKT3_PT2_l16rocsparse_order_.has_indirect_call, 0
	.section	.AMDGPU.csdata,"",@progbits
; Kernel info:
; codeLenInByte = 1904
; TotalNumSgprs: 43
; NumVgprs: 34
; ScratchSize: 0
; MemoryBound: 0
; FloatMode: 240
; IeeeMode: 1
; LDSByteSize: 16384 bytes/workgroup (compile time only)
; SGPRBlocks: 8
; VGPRBlocks: 8
; NumSGPRsForWavesPerEU: 65
; NumVGPRsForWavesPerEU: 34
; Occupancy: 7
; WaveLimiterHint : 0
; COMPUTE_PGM_RSRC2:SCRATCH_EN: 0
; COMPUTE_PGM_RSRC2:USER_SGPR: 6
; COMPUTE_PGM_RSRC2:TRAP_HANDLER: 0
; COMPUTE_PGM_RSRC2:TGID_X_EN: 1
; COMPUTE_PGM_RSRC2:TGID_Y_EN: 0
; COMPUTE_PGM_RSRC2:TGID_Z_EN: 0
; COMPUTE_PGM_RSRC2:TIDIG_COMP_CNT: 0
	.section	.text._ZN9rocsparseL28csrmmnn_general_block_reduceILj1024Eii21rocsparse_complex_numIfES2_EEvT0_PKT1_PKT3_PT2_l16rocsparse_order_,"axG",@progbits,_ZN9rocsparseL28csrmmnn_general_block_reduceILj1024Eii21rocsparse_complex_numIfES2_EEvT0_PKT1_PKT3_PT2_l16rocsparse_order_,comdat
	.globl	_ZN9rocsparseL28csrmmnn_general_block_reduceILj1024Eii21rocsparse_complex_numIfES2_EEvT0_PKT1_PKT3_PT2_l16rocsparse_order_ ; -- Begin function _ZN9rocsparseL28csrmmnn_general_block_reduceILj1024Eii21rocsparse_complex_numIfES2_EEvT0_PKT1_PKT3_PT2_l16rocsparse_order_
	.p2align	8
	.type	_ZN9rocsparseL28csrmmnn_general_block_reduceILj1024Eii21rocsparse_complex_numIfES2_EEvT0_PKT1_PKT3_PT2_l16rocsparse_order_,@function
_ZN9rocsparseL28csrmmnn_general_block_reduceILj1024Eii21rocsparse_complex_numIfES2_EEvT0_PKT1_PKT3_PT2_l16rocsparse_order_: ; @_ZN9rocsparseL28csrmmnn_general_block_reduceILj1024Eii21rocsparse_complex_numIfES2_EEvT0_PKT1_PKT3_PT2_l16rocsparse_order_
; %bb.0:
	s_load_dword s33, s[4:5], 0x0
	v_lshlrev_b32_e32 v3, 2, v0
	v_mov_b32_e32 v1, -1
	v_mov_b32_e32 v2, 0
	ds_write_b32 v3, v1 offset:8192
	v_lshlrev_b32_e32 v7, 3, v0
	v_mov_b32_e32 v1, v2
	s_waitcnt lgkmcnt(0)
	v_cmp_gt_i32_e32 vcc, s33, v0
	ds_write_b64 v7, v[1:2]
	s_waitcnt lgkmcnt(0)
	s_barrier
	s_and_saveexec_b64 s[0:1], vcc
	s_cbranch_execz .LBB9_51
; %bb.1:
	s_load_dword s7, s[4:5], 0x28
	s_load_dwordx8 s[24:31], s[4:5], 0x8
	s_mul_i32 s38, s33, s6
	v_or_b32_e32 v8, 0x2000, v3
	s_movk_i32 s14, 0x7f
	s_waitcnt lgkmcnt(0)
	s_cmp_lg_u32 s7, 1
	s_cselect_b64 s[34:35], -1, 0
	s_ashr_i32 s7, s6, 31
	s_lshl_b64 s[36:37], s[6:7], 3
	s_add_u32 s39, s28, s36
	s_mul_hi_u32 s36, s30, s6
	s_mul_i32 s7, s30, s7
	s_addc_u32 s40, s29, s37
	s_add_i32 s7, s36, s7
	s_mul_i32 s36, s31, s6
	s_add_i32 s7, s7, s36
	s_mul_i32 s6, s30, s6
	s_lshl_b64 s[6:7], s[6:7], 3
	s_movk_i32 s16, 0xff
	s_movk_i32 s18, 0x1ff
	;; [unrolled: 1-line block ×3, first 2 shown]
	s_add_u32 s41, s28, s6
	v_cmp_ne_u32_e64 s[0:1], 0, v0
	v_cmp_lt_u32_e64 s[2:3], 1, v0
	v_add_u32_e32 v9, -8, v8
	v_add_u32_e32 v10, -16, v7
	v_cmp_lt_u32_e64 s[4:5], 3, v0
	v_add_u32_e32 v11, -16, v8
	v_subrev_u32_e32 v12, 32, v7
	v_cmp_lt_u32_e64 s[22:23], 7, v0
	v_subrev_u32_e32 v13, 32, v8
	v_subrev_u32_e32 v14, 64, v7
	v_cmp_lt_u32_e64 s[8:9], 15, v0
	v_subrev_u32_e32 v15, 64, v8
	v_add_u32_e32 v16, 0xffffff80, v7
	v_cmp_lt_u32_e64 s[10:11], 31, v0
	v_add_u32_e32 v17, 0xffffff80, v8
	v_add_u32_e32 v18, 0xffffff00, v7
	v_cmp_lt_u32_e64 s[12:13], 63, v0
	v_add_u32_e32 v19, 0xffffff00, v8
	;; [unrolled: 3-line block ×5, first 2 shown]
	v_add_u32_e32 v26, 0xfffff000, v7
	v_cmp_ne_u32_e64 s[20:21], s20, v0
	s_addc_u32 s42, s29, s7
	s_mov_b64 s[28:29], 0
	v_mov_b32_e32 v27, s25
	v_mov_b32_e32 v28, s27
	s_branch .LBB9_4
.LBB9_2:                                ;   in Loop: Header=BB9_4 Depth=1
	global_store_dword v[3:4], v5, off offset:4
.LBB9_3:                                ;   in Loop: Header=BB9_4 Depth=1
	s_or_b64 exec, exec, s[6:7]
	v_add_u32_e32 v0, 0x400, v0
	v_cmp_le_i32_e32 vcc, s33, v0
	s_or_b64 s[28:29], vcc, s[28:29]
	s_waitcnt vmcnt(0)
	s_barrier
	s_andn2_b64 exec, exec, s[28:29]
	s_cbranch_execz .LBB9_51
.LBB9_4:                                ; =>This Inner Loop Header: Depth=1
	v_ashrrev_i32_e32 v1, 31, v0
	v_lshlrev_b64 v[3:4], 2, v[0:1]
	v_add_co_u32_e32 v3, vcc, s24, v3
	v_addc_co_u32_e32 v4, vcc, v27, v4, vcc
	global_load_dword v1, v[3:4], off
	v_add_u32_e32 v3, s38, v0
	v_ashrrev_i32_e32 v4, 31, v3
	v_lshlrev_b64 v[3:4], 3, v[3:4]
	v_add_co_u32_e32 v3, vcc, s26, v3
	v_addc_co_u32_e32 v4, vcc, v28, v4, vcc
	global_load_dwordx2 v[5:6], v[3:4], off
	v_mov_b32_e32 v4, 0
	v_mov_b32_e32 v3, 0
	s_waitcnt vmcnt(1)
	ds_write_b32 v8, v1
	s_waitcnt vmcnt(0)
	ds_write_b64 v7, v[5:6]
	s_waitcnt lgkmcnt(0)
	s_barrier
	s_and_saveexec_b64 s[6:7], s[0:1]
	s_cbranch_execz .LBB9_8
; %bb.5:                                ;   in Loop: Header=BB9_4 Depth=1
	v_add_u32_e32 v1, -4, v8
	ds_read2_b32 v[4:5], v1 offset1:1
	v_mov_b32_e32 v3, 0
	s_waitcnt lgkmcnt(0)
	v_cmp_eq_u32_e32 vcc, v5, v4
	v_mov_b32_e32 v4, 0
	s_and_saveexec_b64 s[36:37], vcc
; %bb.6:                                ;   in Loop: Header=BB9_4 Depth=1
	v_add_u32_e32 v1, -8, v7
	ds_read_b64 v[3:4], v1
; %bb.7:                                ;   in Loop: Header=BB9_4 Depth=1
	s_or_b64 exec, exec, s[36:37]
.LBB9_8:                                ;   in Loop: Header=BB9_4 Depth=1
	s_or_b64 exec, exec, s[6:7]
	s_waitcnt lgkmcnt(0)
	s_barrier
	ds_read_b64 v[5:6], v7
	s_waitcnt lgkmcnt(0)
	v_add_f32_e32 v3, v3, v5
	v_add_f32_e32 v4, v4, v6
	ds_write_b64 v7, v[3:4]
	v_mov_b32_e32 v4, 0
	v_mov_b32_e32 v6, 0
	;; [unrolled: 1-line block ×3, first 2 shown]
	s_waitcnt lgkmcnt(0)
	s_barrier
	s_and_saveexec_b64 s[6:7], s[2:3]
	s_cbranch_execz .LBB9_12
; %bb.9:                                ;   in Loop: Header=BB9_4 Depth=1
	ds_read_b32 v1, v8
	ds_read_b32 v3, v9
	v_mov_b32_e32 v5, 0
	v_mov_b32_e32 v6, 0
	s_waitcnt lgkmcnt(0)
	v_cmp_eq_u32_e32 vcc, v1, v3
	s_and_saveexec_b64 s[36:37], vcc
; %bb.10:                               ;   in Loop: Header=BB9_4 Depth=1
	ds_read_b64 v[5:6], v10
; %bb.11:                               ;   in Loop: Header=BB9_4 Depth=1
	s_or_b64 exec, exec, s[36:37]
.LBB9_12:                               ;   in Loop: Header=BB9_4 Depth=1
	s_or_b64 exec, exec, s[6:7]
	s_waitcnt lgkmcnt(0)
	s_barrier
	ds_read_b64 v[29:30], v7
	v_mov_b32_e32 v3, 0
	s_waitcnt lgkmcnt(0)
	v_add_f32_e32 v5, v5, v29
	v_add_f32_e32 v6, v6, v30
	ds_write_b64 v7, v[5:6]
	s_waitcnt lgkmcnt(0)
	s_barrier
	s_and_saveexec_b64 s[6:7], s[4:5]
	s_cbranch_execz .LBB9_16
; %bb.13:                               ;   in Loop: Header=BB9_4 Depth=1
	ds_read_b32 v1, v8
	ds_read_b32 v4, v11
	v_mov_b32_e32 v3, 0
	s_waitcnt lgkmcnt(0)
	v_cmp_eq_u32_e32 vcc, v1, v4
	v_mov_b32_e32 v4, 0
	s_and_saveexec_b64 s[36:37], vcc
; %bb.14:                               ;   in Loop: Header=BB9_4 Depth=1
	ds_read_b64 v[3:4], v12
; %bb.15:                               ;   in Loop: Header=BB9_4 Depth=1
	s_or_b64 exec, exec, s[36:37]
.LBB9_16:                               ;   in Loop: Header=BB9_4 Depth=1
	s_or_b64 exec, exec, s[6:7]
	s_waitcnt lgkmcnt(0)
	s_barrier
	ds_read_b64 v[5:6], v7
	s_waitcnt lgkmcnt(0)
	v_add_f32_e32 v3, v3, v5
	v_add_f32_e32 v4, v4, v6
	ds_write_b64 v7, v[3:4]
	v_mov_b32_e32 v4, 0
	v_mov_b32_e32 v6, 0
	v_mov_b32_e32 v5, 0
	s_waitcnt lgkmcnt(0)
	s_barrier
	s_and_saveexec_b64 s[6:7], s[22:23]
	s_cbranch_execz .LBB9_20
; %bb.17:                               ;   in Loop: Header=BB9_4 Depth=1
	ds_read_b32 v1, v8
	ds_read_b32 v3, v13
	v_mov_b32_e32 v5, 0
	v_mov_b32_e32 v6, 0
	s_waitcnt lgkmcnt(0)
	v_cmp_eq_u32_e32 vcc, v1, v3
	s_and_saveexec_b64 s[36:37], vcc
; %bb.18:                               ;   in Loop: Header=BB9_4 Depth=1
	ds_read_b64 v[5:6], v14
; %bb.19:                               ;   in Loop: Header=BB9_4 Depth=1
	s_or_b64 exec, exec, s[36:37]
.LBB9_20:                               ;   in Loop: Header=BB9_4 Depth=1
	s_or_b64 exec, exec, s[6:7]
	s_waitcnt lgkmcnt(0)
	s_barrier
	ds_read_b64 v[29:30], v7
	v_mov_b32_e32 v3, 0
	s_waitcnt lgkmcnt(0)
	v_add_f32_e32 v5, v5, v29
	v_add_f32_e32 v6, v6, v30
	ds_write_b64 v7, v[5:6]
	s_waitcnt lgkmcnt(0)
	s_barrier
	s_and_saveexec_b64 s[6:7], s[8:9]
	s_cbranch_execz .LBB9_24
; %bb.21:                               ;   in Loop: Header=BB9_4 Depth=1
	ds_read_b32 v1, v8
	ds_read_b32 v4, v15
	v_mov_b32_e32 v3, 0
	s_waitcnt lgkmcnt(0)
	v_cmp_eq_u32_e32 vcc, v1, v4
	v_mov_b32_e32 v4, 0
	s_and_saveexec_b64 s[36:37], vcc
; %bb.22:                               ;   in Loop: Header=BB9_4 Depth=1
	ds_read_b64 v[3:4], v16
; %bb.23:                               ;   in Loop: Header=BB9_4 Depth=1
	s_or_b64 exec, exec, s[36:37]
.LBB9_24:                               ;   in Loop: Header=BB9_4 Depth=1
	s_or_b64 exec, exec, s[6:7]
	s_waitcnt lgkmcnt(0)
	s_barrier
	ds_read_b64 v[5:6], v7
	s_waitcnt lgkmcnt(0)
	v_add_f32_e32 v3, v3, v5
	v_add_f32_e32 v4, v4, v6
	ds_write_b64 v7, v[3:4]
	v_mov_b32_e32 v4, 0
	v_mov_b32_e32 v6, 0
	v_mov_b32_e32 v5, 0
	s_waitcnt lgkmcnt(0)
	s_barrier
	s_and_saveexec_b64 s[6:7], s[10:11]
	s_cbranch_execz .LBB9_28
; %bb.25:                               ;   in Loop: Header=BB9_4 Depth=1
	ds_read_b32 v1, v8
	ds_read_b32 v3, v17
	v_mov_b32_e32 v5, 0
	v_mov_b32_e32 v6, 0
	s_waitcnt lgkmcnt(0)
	v_cmp_eq_u32_e32 vcc, v1, v3
	s_and_saveexec_b64 s[36:37], vcc
; %bb.26:                               ;   in Loop: Header=BB9_4 Depth=1
	ds_read_b64 v[5:6], v18
; %bb.27:                               ;   in Loop: Header=BB9_4 Depth=1
	s_or_b64 exec, exec, s[36:37]
.LBB9_28:                               ;   in Loop: Header=BB9_4 Depth=1
	;; [unrolled: 54-line block ×3, first 2 shown]
	s_or_b64 exec, exec, s[6:7]
	s_waitcnt lgkmcnt(0)
	s_barrier
	ds_read_b64 v[29:30], v7
	v_mov_b32_e32 v3, 0
	s_waitcnt lgkmcnt(0)
	v_add_f32_e32 v5, v5, v29
	v_add_f32_e32 v6, v6, v30
	ds_write_b64 v7, v[5:6]
	s_waitcnt lgkmcnt(0)
	s_barrier
	s_and_saveexec_b64 s[6:7], s[16:17]
	s_cbranch_execz .LBB9_40
; %bb.37:                               ;   in Loop: Header=BB9_4 Depth=1
	ds_read_b32 v1, v8
	ds_read_b32 v4, v23
	v_mov_b32_e32 v3, 0
	s_waitcnt lgkmcnt(0)
	v_cmp_eq_u32_e32 vcc, v1, v4
	v_mov_b32_e32 v4, 0
	s_and_saveexec_b64 s[36:37], vcc
; %bb.38:                               ;   in Loop: Header=BB9_4 Depth=1
	ds_read_b64 v[3:4], v24
; %bb.39:                               ;   in Loop: Header=BB9_4 Depth=1
	s_or_b64 exec, exec, s[36:37]
.LBB9_40:                               ;   in Loop: Header=BB9_4 Depth=1
	s_or_b64 exec, exec, s[6:7]
	s_waitcnt lgkmcnt(0)
	s_barrier
	ds_read_b64 v[5:6], v7
	s_waitcnt lgkmcnt(0)
	v_add_f32_e32 v3, v3, v5
	v_add_f32_e32 v4, v4, v6
	ds_write_b64 v7, v[3:4]
	v_mov_b32_e32 v4, 0
	v_mov_b32_e32 v3, 0
	s_waitcnt lgkmcnt(0)
	s_barrier
	s_and_saveexec_b64 s[6:7], s[18:19]
	s_cbranch_execz .LBB9_44
; %bb.41:                               ;   in Loop: Header=BB9_4 Depth=1
	ds_read_b32 v1, v8
	ds_read_b32 v4, v25
	v_mov_b32_e32 v3, 0
	s_waitcnt lgkmcnt(0)
	v_cmp_eq_u32_e32 vcc, v1, v4
	v_mov_b32_e32 v4, 0
	s_and_saveexec_b64 s[36:37], vcc
; %bb.42:                               ;   in Loop: Header=BB9_4 Depth=1
	ds_read_b64 v[3:4], v26
; %bb.43:                               ;   in Loop: Header=BB9_4 Depth=1
	s_or_b64 exec, exec, s[36:37]
.LBB9_44:                               ;   in Loop: Header=BB9_4 Depth=1
	s_or_b64 exec, exec, s[6:7]
	s_waitcnt lgkmcnt(0)
	s_barrier
	ds_read_b64 v[5:6], v7
	s_waitcnt lgkmcnt(0)
	v_add_f32_e32 v3, v3, v5
	v_add_f32_e32 v4, v4, v6
	ds_write_b64 v7, v[3:4]
	s_waitcnt lgkmcnt(0)
	s_barrier
	ds_read_b32 v1, v8
	v_mov_b32_e32 v3, -1
	s_and_saveexec_b64 s[6:7], s[20:21]
; %bb.45:                               ;   in Loop: Header=BB9_4 Depth=1
	ds_read_b32 v3, v8 offset:4
; %bb.46:                               ;   in Loop: Header=BB9_4 Depth=1
	s_or_b64 exec, exec, s[6:7]
	s_waitcnt lgkmcnt(0)
	v_cmp_ne_u32_e32 vcc, v1, v3
	v_cmp_lt_i32_e64 s[6:7], -1, v1
	s_and_b64 s[36:37], s[6:7], vcc
	s_and_saveexec_b64 s[6:7], s[36:37]
	s_cbranch_execz .LBB9_3
; %bb.47:                               ;   in Loop: Header=BB9_4 Depth=1
	s_mov_b64 s[36:37], -1
	s_and_b64 vcc, exec, s[34:35]
                                        ; implicit-def: $vgpr5
                                        ; implicit-def: $vgpr3_vgpr4
	s_cbranch_vccz .LBB9_49
; %bb.48:                               ;   in Loop: Header=BB9_4 Depth=1
	v_mad_u64_u32 v[3:4], s[36:37], s30, v1, 0
	ds_read_b64 v[29:30], v7
	v_mad_u64_u32 v[4:5], s[36:37], s31, v1, v[4:5]
	v_mov_b32_e32 v5, s40
	s_mov_b64 s[36:37], 0
	v_lshlrev_b64 v[3:4], 3, v[3:4]
	v_add_co_u32_e32 v3, vcc, s39, v3
	v_addc_co_u32_e32 v4, vcc, v5, v4, vcc
	global_load_dwordx2 v[5:6], v[3:4], off
	s_waitcnt vmcnt(0) lgkmcnt(0)
	v_add_f32_e32 v29, v29, v5
	v_add_f32_e32 v5, v30, v6
	global_store_dword v[3:4], v29, off
.LBB9_49:                               ;   in Loop: Header=BB9_4 Depth=1
	s_andn2_b64 vcc, exec, s[36:37]
	s_cbranch_vccnz .LBB9_2
; %bb.50:                               ;   in Loop: Header=BB9_4 Depth=1
	v_lshlrev_b64 v[3:4], 3, v[1:2]
	v_mov_b32_e32 v1, s42
	v_add_co_u32_e32 v3, vcc, s41, v3
	v_addc_co_u32_e32 v4, vcc, v1, v4, vcc
	global_load_dwordx2 v[5:6], v[3:4], off
	ds_read_b64 v[29:30], v7
	s_waitcnt vmcnt(0) lgkmcnt(0)
	v_add_f32_e32 v1, v29, v5
	v_add_f32_e32 v5, v30, v6
	global_store_dword v[3:4], v1, off
	s_branch .LBB9_2
.LBB9_51:
	s_endpgm
	.section	.rodata,"a",@progbits
	.p2align	6, 0x0
	.amdhsa_kernel _ZN9rocsparseL28csrmmnn_general_block_reduceILj1024Eii21rocsparse_complex_numIfES2_EEvT0_PKT1_PKT3_PT2_l16rocsparse_order_
		.amdhsa_group_segment_fixed_size 12288
		.amdhsa_private_segment_fixed_size 0
		.amdhsa_kernarg_size 44
		.amdhsa_user_sgpr_count 6
		.amdhsa_user_sgpr_private_segment_buffer 1
		.amdhsa_user_sgpr_dispatch_ptr 0
		.amdhsa_user_sgpr_queue_ptr 0
		.amdhsa_user_sgpr_kernarg_segment_ptr 1
		.amdhsa_user_sgpr_dispatch_id 0
		.amdhsa_user_sgpr_flat_scratch_init 0
		.amdhsa_user_sgpr_private_segment_size 0
		.amdhsa_uses_dynamic_stack 0
		.amdhsa_system_sgpr_private_segment_wavefront_offset 0
		.amdhsa_system_sgpr_workgroup_id_x 1
		.amdhsa_system_sgpr_workgroup_id_y 0
		.amdhsa_system_sgpr_workgroup_id_z 0
		.amdhsa_system_sgpr_workgroup_info 0
		.amdhsa_system_vgpr_workitem_id 0
		.amdhsa_next_free_vgpr 31
		.amdhsa_next_free_sgpr 61
		.amdhsa_reserve_vcc 1
		.amdhsa_reserve_flat_scratch 0
		.amdhsa_float_round_mode_32 0
		.amdhsa_float_round_mode_16_64 0
		.amdhsa_float_denorm_mode_32 3
		.amdhsa_float_denorm_mode_16_64 3
		.amdhsa_dx10_clamp 1
		.amdhsa_ieee_mode 1
		.amdhsa_fp16_overflow 0
		.amdhsa_exception_fp_ieee_invalid_op 0
		.amdhsa_exception_fp_denorm_src 0
		.amdhsa_exception_fp_ieee_div_zero 0
		.amdhsa_exception_fp_ieee_overflow 0
		.amdhsa_exception_fp_ieee_underflow 0
		.amdhsa_exception_fp_ieee_inexact 0
		.amdhsa_exception_int_div_zero 0
	.end_amdhsa_kernel
	.section	.text._ZN9rocsparseL28csrmmnn_general_block_reduceILj1024Eii21rocsparse_complex_numIfES2_EEvT0_PKT1_PKT3_PT2_l16rocsparse_order_,"axG",@progbits,_ZN9rocsparseL28csrmmnn_general_block_reduceILj1024Eii21rocsparse_complex_numIfES2_EEvT0_PKT1_PKT3_PT2_l16rocsparse_order_,comdat
.Lfunc_end9:
	.size	_ZN9rocsparseL28csrmmnn_general_block_reduceILj1024Eii21rocsparse_complex_numIfES2_EEvT0_PKT1_PKT3_PT2_l16rocsparse_order_, .Lfunc_end9-_ZN9rocsparseL28csrmmnn_general_block_reduceILj1024Eii21rocsparse_complex_numIfES2_EEvT0_PKT1_PKT3_PT2_l16rocsparse_order_
                                        ; -- End function
	.set _ZN9rocsparseL28csrmmnn_general_block_reduceILj1024Eii21rocsparse_complex_numIfES2_EEvT0_PKT1_PKT3_PT2_l16rocsparse_order_.num_vgpr, 31
	.set _ZN9rocsparseL28csrmmnn_general_block_reduceILj1024Eii21rocsparse_complex_numIfES2_EEvT0_PKT1_PKT3_PT2_l16rocsparse_order_.num_agpr, 0
	.set _ZN9rocsparseL28csrmmnn_general_block_reduceILj1024Eii21rocsparse_complex_numIfES2_EEvT0_PKT1_PKT3_PT2_l16rocsparse_order_.numbered_sgpr, 43
	.set _ZN9rocsparseL28csrmmnn_general_block_reduceILj1024Eii21rocsparse_complex_numIfES2_EEvT0_PKT1_PKT3_PT2_l16rocsparse_order_.num_named_barrier, 0
	.set _ZN9rocsparseL28csrmmnn_general_block_reduceILj1024Eii21rocsparse_complex_numIfES2_EEvT0_PKT1_PKT3_PT2_l16rocsparse_order_.private_seg_size, 0
	.set _ZN9rocsparseL28csrmmnn_general_block_reduceILj1024Eii21rocsparse_complex_numIfES2_EEvT0_PKT1_PKT3_PT2_l16rocsparse_order_.uses_vcc, 1
	.set _ZN9rocsparseL28csrmmnn_general_block_reduceILj1024Eii21rocsparse_complex_numIfES2_EEvT0_PKT1_PKT3_PT2_l16rocsparse_order_.uses_flat_scratch, 0
	.set _ZN9rocsparseL28csrmmnn_general_block_reduceILj1024Eii21rocsparse_complex_numIfES2_EEvT0_PKT1_PKT3_PT2_l16rocsparse_order_.has_dyn_sized_stack, 0
	.set _ZN9rocsparseL28csrmmnn_general_block_reduceILj1024Eii21rocsparse_complex_numIfES2_EEvT0_PKT1_PKT3_PT2_l16rocsparse_order_.has_recursion, 0
	.set _ZN9rocsparseL28csrmmnn_general_block_reduceILj1024Eii21rocsparse_complex_numIfES2_EEvT0_PKT1_PKT3_PT2_l16rocsparse_order_.has_indirect_call, 0
	.section	.AMDGPU.csdata,"",@progbits
; Kernel info:
; codeLenInByte = 1868
; TotalNumSgprs: 47
; NumVgprs: 31
; ScratchSize: 0
; MemoryBound: 0
; FloatMode: 240
; IeeeMode: 1
; LDSByteSize: 12288 bytes/workgroup (compile time only)
; SGPRBlocks: 8
; VGPRBlocks: 7
; NumSGPRsForWavesPerEU: 65
; NumVGPRsForWavesPerEU: 31
; Occupancy: 8
; WaveLimiterHint : 0
; COMPUTE_PGM_RSRC2:SCRATCH_EN: 0
; COMPUTE_PGM_RSRC2:USER_SGPR: 6
; COMPUTE_PGM_RSRC2:TRAP_HANDLER: 0
; COMPUTE_PGM_RSRC2:TGID_X_EN: 1
; COMPUTE_PGM_RSRC2:TGID_Y_EN: 0
; COMPUTE_PGM_RSRC2:TGID_Z_EN: 0
; COMPUTE_PGM_RSRC2:TIDIG_COMP_CNT: 0
	.section	.text._ZN9rocsparseL28csrmmnn_general_block_reduceILj1024Eli21rocsparse_complex_numIfES2_EEvT0_PKT1_PKT3_PT2_l16rocsparse_order_,"axG",@progbits,_ZN9rocsparseL28csrmmnn_general_block_reduceILj1024Eli21rocsparse_complex_numIfES2_EEvT0_PKT1_PKT3_PT2_l16rocsparse_order_,comdat
	.globl	_ZN9rocsparseL28csrmmnn_general_block_reduceILj1024Eli21rocsparse_complex_numIfES2_EEvT0_PKT1_PKT3_PT2_l16rocsparse_order_ ; -- Begin function _ZN9rocsparseL28csrmmnn_general_block_reduceILj1024Eli21rocsparse_complex_numIfES2_EEvT0_PKT1_PKT3_PT2_l16rocsparse_order_
	.p2align	8
	.type	_ZN9rocsparseL28csrmmnn_general_block_reduceILj1024Eli21rocsparse_complex_numIfES2_EEvT0_PKT1_PKT3_PT2_l16rocsparse_order_,@function
_ZN9rocsparseL28csrmmnn_general_block_reduceILj1024Eli21rocsparse_complex_numIfES2_EEvT0_PKT1_PKT3_PT2_l16rocsparse_order_: ; @_ZN9rocsparseL28csrmmnn_general_block_reduceILj1024Eli21rocsparse_complex_numIfES2_EEvT0_PKT1_PKT3_PT2_l16rocsparse_order_
; %bb.0:
	s_load_dwordx2 s[34:35], s[4:5], 0x0
	v_mov_b32_e32 v1, 0
	v_mov_b32_e32 v2, -1
	v_lshlrev_b32_e32 v10, 3, v0
	v_mov_b32_e32 v3, v2
	s_waitcnt lgkmcnt(0)
	v_cmp_gt_i64_e32 vcc, s[34:35], v[0:1]
	s_mov_b32 s7, 0
	v_mov_b32_e32 v4, v1
	v_mov_b32_e32 v5, v1
	ds_write2st64_b64 v10, v[2:3], v[4:5] offset1:16
	s_waitcnt lgkmcnt(0)
	s_barrier
	s_and_saveexec_b64 s[0:1], vcc
	s_cbranch_execz .LBB10_51
; %bb.1:
	s_load_dwordx8 s[24:31], s[4:5], 0x8
	s_load_dword s20, s[4:5], 0x28
	s_lshl_b64 s[2:3], s[6:7], 3
	s_movk_i32 s7, 0x7f
	v_cmp_lt_u32_e64 s[14:15], s7, v0
	s_waitcnt lgkmcnt(0)
	s_add_u32 s33, s28, s2
	s_movk_i32 s7, 0xff
	s_addc_u32 s38, s29, s3
	v_cmp_lt_u32_e64 s[16:17], s7, v0
	s_movk_i32 s7, 0x1ff
	v_cmp_lt_u32_e64 s[18:19], s7, v0
	s_cmp_lg_u32 s20, 1
	s_mul_i32 s7, s31, s6
	s_mul_hi_u32 s20, s30, s6
	s_cselect_b64 s[36:37], -1, 0
	s_add_i32 s21, s20, s7
	s_mul_i32 s20, s30, s6
	s_lshl_b64 s[20:21], s[20:21], 3
	s_add_u32 s28, s28, s20
	s_mul_i32 s7, s35, s6
	s_mul_hi_u32 s20, s34, s6
	s_addc_u32 s29, s29, s21
	s_add_i32 s7, s20, s7
	s_mul_i32 s6, s34, s6
	s_lshl_b64 s[6:7], s[6:7], 3
	s_add_u32 s6, s26, s6
	v_lshlrev_b32_e32 v2, 3, v0
	s_addc_u32 s7, s27, s7
	v_mov_b32_e32 v3, s7
	v_add_co_u32_e32 v2, vcc, s6, v2
	v_addc_co_u32_e32 v3, vcc, 0, v3, vcc
	v_lshlrev_b32_e32 v4, 2, v0
	v_or_b32_e32 v11, 0x2000, v10
	v_mov_b32_e32 v5, s25
	v_add_co_u32_e32 v4, vcc, s24, v4
	s_movk_i32 s6, 0x3ff
	v_cmp_ne_u32_e64 s[0:1], 0, v0
	v_add_u32_e32 v12, -8, v11
	v_cmp_lt_u32_e64 s[2:3], 1, v0
	v_add_u32_e32 v13, -16, v10
	v_add_u32_e32 v14, -16, v11
	v_cmp_lt_u32_e64 s[4:5], 3, v0
	v_subrev_u32_e32 v15, 32, v10
	v_subrev_u32_e32 v16, 32, v11
	v_cmp_lt_u32_e64 s[22:23], 7, v0
	v_subrev_u32_e32 v17, 64, v10
	v_subrev_u32_e32 v18, 64, v11
	v_cmp_lt_u32_e64 s[8:9], 15, v0
	v_add_u32_e32 v19, 0xffffff80, v10
	v_add_u32_e32 v20, 0xffffff80, v11
	v_cmp_lt_u32_e64 s[10:11], 31, v0
	v_add_u32_e32 v21, 0xffffff00, v10
	v_add_u32_e32 v22, 0xffffff00, v11
	;; [unrolled: 3-line block ×3, first 2 shown]
	v_add_u32_e32 v25, 0xfffffc00, v10
	v_add_u32_e32 v26, 0xfffffc00, v11
	;; [unrolled: 1-line block ×5, first 2 shown]
	v_addc_co_u32_e32 v5, vcc, 0, v5, vcc
	v_add_u32_e32 v30, 0xfffff000, v11
	v_cmp_ne_u32_e64 s[20:21], s6, v0
	s_mov_b64 s[24:25], 0
	s_branch .LBB10_4
.LBB10_2:                               ;   in Loop: Header=BB10_4 Depth=1
	global_store_dword v[8:9], v31, off offset:4
.LBB10_3:                               ;   in Loop: Header=BB10_4 Depth=1
	s_or_b64 exec, exec, s[6:7]
	v_add_co_u32_e32 v0, vcc, 0x400, v0
	v_addc_co_u32_e32 v1, vcc, 0, v1, vcc
	v_add_co_u32_e32 v2, vcc, 0x2000, v2
	v_addc_co_u32_e32 v3, vcc, 0, v3, vcc
	v_cmp_le_i64_e64 s[6:7], s[34:35], v[0:1]
	v_add_co_u32_e32 v4, vcc, 0x1000, v4
	s_or_b64 s[24:25], s[6:7], s[24:25]
	v_addc_co_u32_e32 v5, vcc, 0, v5, vcc
	s_waitcnt vmcnt(0)
	s_barrier
	s_andn2_b64 exec, exec, s[24:25]
	s_cbranch_execz .LBB10_51
.LBB10_4:                               ; =>This Inner Loop Header: Depth=1
	global_load_dword v31, v[4:5], off
	global_load_dwordx2 v[33:34], v[2:3], off
	v_mov_b32_e32 v7, 0
	v_mov_b32_e32 v9, 0
	;; [unrolled: 1-line block ×3, first 2 shown]
	s_waitcnt vmcnt(1)
	v_ashrrev_i32_e32 v32, 31, v31
	s_waitcnt vmcnt(0)
	ds_write_b64 v11, v[33:34]
	ds_write_b64 v10, v[31:32]
	s_waitcnt lgkmcnt(0)
	s_barrier
	s_and_saveexec_b64 s[6:7], s[0:1]
	s_cbranch_execz .LBB10_8
; %bb.5:                                ;   in Loop: Header=BB10_4 Depth=1
	v_add_u32_e32 v6, -8, v10
	ds_read2_b64 v[31:34], v6 offset1:1
	v_mov_b32_e32 v8, 0
	v_mov_b32_e32 v9, 0
	s_waitcnt lgkmcnt(0)
	v_cmp_eq_u64_e32 vcc, v[33:34], v[31:32]
	s_and_saveexec_b64 s[26:27], vcc
; %bb.6:                                ;   in Loop: Header=BB10_4 Depth=1
	ds_read_b64 v[8:9], v12
; %bb.7:                                ;   in Loop: Header=BB10_4 Depth=1
	s_or_b64 exec, exec, s[26:27]
.LBB10_8:                               ;   in Loop: Header=BB10_4 Depth=1
	s_or_b64 exec, exec, s[6:7]
	s_waitcnt lgkmcnt(0)
	s_barrier
	ds_read_b64 v[31:32], v11
	v_mov_b32_e32 v6, 0
	s_waitcnt lgkmcnt(0)
	v_add_f32_e32 v8, v8, v31
	v_add_f32_e32 v9, v9, v32
	ds_write_b64 v11, v[8:9]
	s_waitcnt lgkmcnt(0)
	s_barrier
	s_and_saveexec_b64 s[6:7], s[2:3]
	s_cbranch_execz .LBB10_12
; %bb.9:                                ;   in Loop: Header=BB10_4 Depth=1
	ds_read_b64 v[6:7], v10
	ds_read_b64 v[8:9], v13
	s_waitcnt lgkmcnt(0)
	v_cmp_eq_u64_e32 vcc, v[6:7], v[8:9]
	v_mov_b32_e32 v6, 0
	v_mov_b32_e32 v7, 0
	s_and_saveexec_b64 s[26:27], vcc
; %bb.10:                               ;   in Loop: Header=BB10_4 Depth=1
	ds_read_b64 v[6:7], v14
; %bb.11:                               ;   in Loop: Header=BB10_4 Depth=1
	s_or_b64 exec, exec, s[26:27]
.LBB10_12:                              ;   in Loop: Header=BB10_4 Depth=1
	s_or_b64 exec, exec, s[6:7]
	s_waitcnt lgkmcnt(0)
	s_barrier
	ds_read_b64 v[8:9], v11
	s_waitcnt lgkmcnt(0)
	v_add_f32_e32 v6, v6, v8
	v_add_f32_e32 v7, v7, v9
	ds_write_b64 v11, v[6:7]
	v_mov_b32_e32 v7, 0
	v_mov_b32_e32 v9, 0
	v_mov_b32_e32 v8, 0
	s_waitcnt lgkmcnt(0)
	s_barrier
	s_and_saveexec_b64 s[6:7], s[4:5]
	s_cbranch_execz .LBB10_16
; %bb.13:                               ;   in Loop: Header=BB10_4 Depth=1
	ds_read_b64 v[8:9], v10
	ds_read_b64 v[31:32], v15
	s_waitcnt lgkmcnt(0)
	v_cmp_eq_u64_e32 vcc, v[8:9], v[31:32]
	v_mov_b32_e32 v8, 0
	v_mov_b32_e32 v9, 0
	s_and_saveexec_b64 s[26:27], vcc
; %bb.14:                               ;   in Loop: Header=BB10_4 Depth=1
	ds_read_b64 v[8:9], v16
; %bb.15:                               ;   in Loop: Header=BB10_4 Depth=1
	s_or_b64 exec, exec, s[26:27]
.LBB10_16:                              ;   in Loop: Header=BB10_4 Depth=1
	s_or_b64 exec, exec, s[6:7]
	s_waitcnt lgkmcnt(0)
	s_barrier
	ds_read_b64 v[31:32], v11
	v_mov_b32_e32 v6, 0
	s_waitcnt lgkmcnt(0)
	v_add_f32_e32 v8, v8, v31
	v_add_f32_e32 v9, v9, v32
	ds_write_b64 v11, v[8:9]
	s_waitcnt lgkmcnt(0)
	s_barrier
	s_and_saveexec_b64 s[6:7], s[22:23]
	s_cbranch_execz .LBB10_20
; %bb.17:                               ;   in Loop: Header=BB10_4 Depth=1
	ds_read_b64 v[6:7], v10
	ds_read_b64 v[8:9], v17
	s_waitcnt lgkmcnt(0)
	v_cmp_eq_u64_e32 vcc, v[6:7], v[8:9]
	v_mov_b32_e32 v6, 0
	v_mov_b32_e32 v7, 0
	s_and_saveexec_b64 s[26:27], vcc
; %bb.18:                               ;   in Loop: Header=BB10_4 Depth=1
	ds_read_b64 v[6:7], v18
; %bb.19:                               ;   in Loop: Header=BB10_4 Depth=1
	s_or_b64 exec, exec, s[26:27]
.LBB10_20:                              ;   in Loop: Header=BB10_4 Depth=1
	s_or_b64 exec, exec, s[6:7]
	s_waitcnt lgkmcnt(0)
	s_barrier
	ds_read_b64 v[8:9], v11
	s_waitcnt lgkmcnt(0)
	v_add_f32_e32 v6, v6, v8
	v_add_f32_e32 v7, v7, v9
	ds_write_b64 v11, v[6:7]
	v_mov_b32_e32 v7, 0
	v_mov_b32_e32 v9, 0
	v_mov_b32_e32 v8, 0
	s_waitcnt lgkmcnt(0)
	s_barrier
	s_and_saveexec_b64 s[6:7], s[8:9]
	s_cbranch_execz .LBB10_24
; %bb.21:                               ;   in Loop: Header=BB10_4 Depth=1
	ds_read_b64 v[8:9], v10
	ds_read_b64 v[31:32], v19
	s_waitcnt lgkmcnt(0)
	v_cmp_eq_u64_e32 vcc, v[8:9], v[31:32]
	v_mov_b32_e32 v8, 0
	v_mov_b32_e32 v9, 0
	s_and_saveexec_b64 s[26:27], vcc
; %bb.22:                               ;   in Loop: Header=BB10_4 Depth=1
	ds_read_b64 v[8:9], v20
; %bb.23:                               ;   in Loop: Header=BB10_4 Depth=1
	s_or_b64 exec, exec, s[26:27]
.LBB10_24:                              ;   in Loop: Header=BB10_4 Depth=1
	s_or_b64 exec, exec, s[6:7]
	s_waitcnt lgkmcnt(0)
	s_barrier
	ds_read_b64 v[31:32], v11
	v_mov_b32_e32 v6, 0
	s_waitcnt lgkmcnt(0)
	v_add_f32_e32 v8, v8, v31
	v_add_f32_e32 v9, v9, v32
	ds_write_b64 v11, v[8:9]
	s_waitcnt lgkmcnt(0)
	s_barrier
	s_and_saveexec_b64 s[6:7], s[10:11]
	s_cbranch_execz .LBB10_28
; %bb.25:                               ;   in Loop: Header=BB10_4 Depth=1
	ds_read_b64 v[6:7], v10
	ds_read_b64 v[8:9], v21
	s_waitcnt lgkmcnt(0)
	v_cmp_eq_u64_e32 vcc, v[6:7], v[8:9]
	v_mov_b32_e32 v6, 0
	v_mov_b32_e32 v7, 0
	s_and_saveexec_b64 s[26:27], vcc
; %bb.26:                               ;   in Loop: Header=BB10_4 Depth=1
	ds_read_b64 v[6:7], v22
; %bb.27:                               ;   in Loop: Header=BB10_4 Depth=1
	s_or_b64 exec, exec, s[26:27]
.LBB10_28:                              ;   in Loop: Header=BB10_4 Depth=1
	;; [unrolled: 54-line block ×4, first 2 shown]
	s_or_b64 exec, exec, s[6:7]
	s_waitcnt lgkmcnt(0)
	s_barrier
	ds_read_b64 v[8:9], v11
	s_waitcnt lgkmcnt(0)
	v_add_f32_e32 v6, v6, v8
	v_add_f32_e32 v7, v7, v9
	ds_write_b64 v11, v[6:7]
	s_waitcnt lgkmcnt(0)
	s_barrier
	ds_read_b64 v[6:7], v10
	v_mov_b32_e32 v8, -1
	v_mov_b32_e32 v9, -1
	s_and_saveexec_b64 s[6:7], s[20:21]
; %bb.45:                               ;   in Loop: Header=BB10_4 Depth=1
	ds_read_b64 v[8:9], v10 offset:8
; %bb.46:                               ;   in Loop: Header=BB10_4 Depth=1
	s_or_b64 exec, exec, s[6:7]
	s_waitcnt lgkmcnt(0)
	v_cmp_ne_u64_e32 vcc, v[6:7], v[8:9]
	v_cmp_lt_i64_e64 s[6:7], -1, v[6:7]
	s_and_b64 s[26:27], s[6:7], vcc
	s_and_saveexec_b64 s[6:7], s[26:27]
	s_cbranch_execz .LBB10_3
; %bb.47:                               ;   in Loop: Header=BB10_4 Depth=1
	s_mov_b64 s[26:27], -1
	s_and_b64 vcc, exec, s[36:37]
                                        ; implicit-def: $vgpr31
                                        ; implicit-def: $vgpr8_vgpr9
	s_cbranch_vccz .LBB10_49
; %bb.48:                               ;   in Loop: Header=BB10_4 Depth=1
	v_mul_lo_u32 v31, v7, s30
	v_mul_lo_u32 v32, v6, s31
	v_mad_u64_u32 v[8:9], s[26:27], v6, s30, 0
	ds_read_b64 v[33:34], v11
	s_mov_b64 s[26:27], 0
	v_add3_u32 v9, v9, v32, v31
	v_lshlrev_b64 v[8:9], 3, v[8:9]
	v_mov_b32_e32 v31, s38
	v_add_co_u32_e32 v8, vcc, s33, v8
	v_addc_co_u32_e32 v9, vcc, v31, v9, vcc
	global_load_dwordx2 v[31:32], v[8:9], off
	s_waitcnt vmcnt(0) lgkmcnt(0)
	v_add_f32_e32 v33, v33, v31
	v_add_f32_e32 v31, v34, v32
	global_store_dword v[8:9], v33, off
.LBB10_49:                              ;   in Loop: Header=BB10_4 Depth=1
	s_andn2_b64 vcc, exec, s[26:27]
	s_cbranch_vccnz .LBB10_2
; %bb.50:                               ;   in Loop: Header=BB10_4 Depth=1
	v_lshlrev_b64 v[6:7], 3, v[6:7]
	v_mov_b32_e32 v9, s29
	v_add_co_u32_e32 v8, vcc, s28, v6
	v_addc_co_u32_e32 v9, vcc, v9, v7, vcc
	global_load_dwordx2 v[6:7], v[8:9], off
	ds_read_b64 v[31:32], v11
	s_waitcnt vmcnt(0) lgkmcnt(0)
	v_add_f32_e32 v6, v31, v6
	v_add_f32_e32 v31, v32, v7
	global_store_dword v[8:9], v6, off
	s_branch .LBB10_2
.LBB10_51:
	s_endpgm
	.section	.rodata,"a",@progbits
	.p2align	6, 0x0
	.amdhsa_kernel _ZN9rocsparseL28csrmmnn_general_block_reduceILj1024Eli21rocsparse_complex_numIfES2_EEvT0_PKT1_PKT3_PT2_l16rocsparse_order_
		.amdhsa_group_segment_fixed_size 16384
		.amdhsa_private_segment_fixed_size 0
		.amdhsa_kernarg_size 44
		.amdhsa_user_sgpr_count 6
		.amdhsa_user_sgpr_private_segment_buffer 1
		.amdhsa_user_sgpr_dispatch_ptr 0
		.amdhsa_user_sgpr_queue_ptr 0
		.amdhsa_user_sgpr_kernarg_segment_ptr 1
		.amdhsa_user_sgpr_dispatch_id 0
		.amdhsa_user_sgpr_flat_scratch_init 0
		.amdhsa_user_sgpr_private_segment_size 0
		.amdhsa_uses_dynamic_stack 0
		.amdhsa_system_sgpr_private_segment_wavefront_offset 0
		.amdhsa_system_sgpr_workgroup_id_x 1
		.amdhsa_system_sgpr_workgroup_id_y 0
		.amdhsa_system_sgpr_workgroup_id_z 0
		.amdhsa_system_sgpr_workgroup_info 0
		.amdhsa_system_vgpr_workitem_id 0
		.amdhsa_next_free_vgpr 35
		.amdhsa_next_free_sgpr 61
		.amdhsa_reserve_vcc 1
		.amdhsa_reserve_flat_scratch 0
		.amdhsa_float_round_mode_32 0
		.amdhsa_float_round_mode_16_64 0
		.amdhsa_float_denorm_mode_32 3
		.amdhsa_float_denorm_mode_16_64 3
		.amdhsa_dx10_clamp 1
		.amdhsa_ieee_mode 1
		.amdhsa_fp16_overflow 0
		.amdhsa_exception_fp_ieee_invalid_op 0
		.amdhsa_exception_fp_denorm_src 0
		.amdhsa_exception_fp_ieee_div_zero 0
		.amdhsa_exception_fp_ieee_overflow 0
		.amdhsa_exception_fp_ieee_underflow 0
		.amdhsa_exception_fp_ieee_inexact 0
		.amdhsa_exception_int_div_zero 0
	.end_amdhsa_kernel
	.section	.text._ZN9rocsparseL28csrmmnn_general_block_reduceILj1024Eli21rocsparse_complex_numIfES2_EEvT0_PKT1_PKT3_PT2_l16rocsparse_order_,"axG",@progbits,_ZN9rocsparseL28csrmmnn_general_block_reduceILj1024Eli21rocsparse_complex_numIfES2_EEvT0_PKT1_PKT3_PT2_l16rocsparse_order_,comdat
.Lfunc_end10:
	.size	_ZN9rocsparseL28csrmmnn_general_block_reduceILj1024Eli21rocsparse_complex_numIfES2_EEvT0_PKT1_PKT3_PT2_l16rocsparse_order_, .Lfunc_end10-_ZN9rocsparseL28csrmmnn_general_block_reduceILj1024Eli21rocsparse_complex_numIfES2_EEvT0_PKT1_PKT3_PT2_l16rocsparse_order_
                                        ; -- End function
	.set _ZN9rocsparseL28csrmmnn_general_block_reduceILj1024Eli21rocsparse_complex_numIfES2_EEvT0_PKT1_PKT3_PT2_l16rocsparse_order_.num_vgpr, 35
	.set _ZN9rocsparseL28csrmmnn_general_block_reduceILj1024Eli21rocsparse_complex_numIfES2_EEvT0_PKT1_PKT3_PT2_l16rocsparse_order_.num_agpr, 0
	.set _ZN9rocsparseL28csrmmnn_general_block_reduceILj1024Eli21rocsparse_complex_numIfES2_EEvT0_PKT1_PKT3_PT2_l16rocsparse_order_.numbered_sgpr, 39
	.set _ZN9rocsparseL28csrmmnn_general_block_reduceILj1024Eli21rocsparse_complex_numIfES2_EEvT0_PKT1_PKT3_PT2_l16rocsparse_order_.num_named_barrier, 0
	.set _ZN9rocsparseL28csrmmnn_general_block_reduceILj1024Eli21rocsparse_complex_numIfES2_EEvT0_PKT1_PKT3_PT2_l16rocsparse_order_.private_seg_size, 0
	.set _ZN9rocsparseL28csrmmnn_general_block_reduceILj1024Eli21rocsparse_complex_numIfES2_EEvT0_PKT1_PKT3_PT2_l16rocsparse_order_.uses_vcc, 1
	.set _ZN9rocsparseL28csrmmnn_general_block_reduceILj1024Eli21rocsparse_complex_numIfES2_EEvT0_PKT1_PKT3_PT2_l16rocsparse_order_.uses_flat_scratch, 0
	.set _ZN9rocsparseL28csrmmnn_general_block_reduceILj1024Eli21rocsparse_complex_numIfES2_EEvT0_PKT1_PKT3_PT2_l16rocsparse_order_.has_dyn_sized_stack, 0
	.set _ZN9rocsparseL28csrmmnn_general_block_reduceILj1024Eli21rocsparse_complex_numIfES2_EEvT0_PKT1_PKT3_PT2_l16rocsparse_order_.has_recursion, 0
	.set _ZN9rocsparseL28csrmmnn_general_block_reduceILj1024Eli21rocsparse_complex_numIfES2_EEvT0_PKT1_PKT3_PT2_l16rocsparse_order_.has_indirect_call, 0
	.section	.AMDGPU.csdata,"",@progbits
; Kernel info:
; codeLenInByte = 1920
; TotalNumSgprs: 43
; NumVgprs: 35
; ScratchSize: 0
; MemoryBound: 0
; FloatMode: 240
; IeeeMode: 1
; LDSByteSize: 16384 bytes/workgroup (compile time only)
; SGPRBlocks: 8
; VGPRBlocks: 8
; NumSGPRsForWavesPerEU: 65
; NumVGPRsForWavesPerEU: 35
; Occupancy: 7
; WaveLimiterHint : 0
; COMPUTE_PGM_RSRC2:SCRATCH_EN: 0
; COMPUTE_PGM_RSRC2:USER_SGPR: 6
; COMPUTE_PGM_RSRC2:TRAP_HANDLER: 0
; COMPUTE_PGM_RSRC2:TGID_X_EN: 1
; COMPUTE_PGM_RSRC2:TGID_Y_EN: 0
; COMPUTE_PGM_RSRC2:TGID_Z_EN: 0
; COMPUTE_PGM_RSRC2:TIDIG_COMP_CNT: 0
	.section	.text._ZN9rocsparseL28csrmmnn_general_block_reduceILj1024Ell21rocsparse_complex_numIfES2_EEvT0_PKT1_PKT3_PT2_l16rocsparse_order_,"axG",@progbits,_ZN9rocsparseL28csrmmnn_general_block_reduceILj1024Ell21rocsparse_complex_numIfES2_EEvT0_PKT1_PKT3_PT2_l16rocsparse_order_,comdat
	.globl	_ZN9rocsparseL28csrmmnn_general_block_reduceILj1024Ell21rocsparse_complex_numIfES2_EEvT0_PKT1_PKT3_PT2_l16rocsparse_order_ ; -- Begin function _ZN9rocsparseL28csrmmnn_general_block_reduceILj1024Ell21rocsparse_complex_numIfES2_EEvT0_PKT1_PKT3_PT2_l16rocsparse_order_
	.p2align	8
	.type	_ZN9rocsparseL28csrmmnn_general_block_reduceILj1024Ell21rocsparse_complex_numIfES2_EEvT0_PKT1_PKT3_PT2_l16rocsparse_order_,@function
_ZN9rocsparseL28csrmmnn_general_block_reduceILj1024Ell21rocsparse_complex_numIfES2_EEvT0_PKT1_PKT3_PT2_l16rocsparse_order_: ; @_ZN9rocsparseL28csrmmnn_general_block_reduceILj1024Ell21rocsparse_complex_numIfES2_EEvT0_PKT1_PKT3_PT2_l16rocsparse_order_
; %bb.0:
	s_load_dwordx2 s[34:35], s[4:5], 0x0
	v_mov_b32_e32 v1, 0
	v_mov_b32_e32 v2, -1
	v_lshlrev_b32_e32 v10, 3, v0
	v_mov_b32_e32 v3, v2
	s_waitcnt lgkmcnt(0)
	v_cmp_gt_i64_e32 vcc, s[34:35], v[0:1]
	s_mov_b32 s7, 0
	v_mov_b32_e32 v4, v1
	v_mov_b32_e32 v5, v1
	ds_write2st64_b64 v10, v[2:3], v[4:5] offset1:16
	s_waitcnt lgkmcnt(0)
	s_barrier
	s_and_saveexec_b64 s[0:1], vcc
	s_cbranch_execz .LBB11_51
; %bb.1:
	s_load_dwordx8 s[24:31], s[4:5], 0x8
	s_load_dword s20, s[4:5], 0x28
	s_lshl_b64 s[2:3], s[6:7], 3
	s_movk_i32 s7, 0x7f
	v_cmp_lt_u32_e64 s[14:15], s7, v0
	s_waitcnt lgkmcnt(0)
	s_add_u32 s33, s28, s2
	s_movk_i32 s7, 0xff
	s_addc_u32 s38, s29, s3
	v_cmp_lt_u32_e64 s[16:17], s7, v0
	s_movk_i32 s7, 0x1ff
	v_cmp_lt_u32_e64 s[18:19], s7, v0
	s_cmp_lg_u32 s20, 1
	s_mul_i32 s7, s31, s6
	s_mul_hi_u32 s20, s30, s6
	s_cselect_b64 s[36:37], -1, 0
	s_add_i32 s21, s20, s7
	s_mul_i32 s20, s30, s6
	s_lshl_b64 s[20:21], s[20:21], 3
	s_add_u32 s28, s28, s20
	s_mul_i32 s7, s35, s6
	s_mul_hi_u32 s20, s34, s6
	s_addc_u32 s29, s29, s21
	s_add_i32 s7, s20, s7
	s_mul_i32 s6, s34, s6
	s_lshl_b64 s[6:7], s[6:7], 3
	s_add_u32 s6, s26, s6
	v_lshlrev_b32_e32 v4, 3, v0
	s_addc_u32 s7, s27, s7
	v_mov_b32_e32 v3, s7
	v_add_co_u32_e32 v2, vcc, s6, v4
	v_addc_co_u32_e32 v3, vcc, 0, v3, vcc
	v_or_b32_e32 v11, 0x2000, v10
	v_mov_b32_e32 v5, s25
	v_add_co_u32_e32 v4, vcc, s24, v4
	s_movk_i32 s6, 0x3ff
	v_cmp_ne_u32_e64 s[0:1], 0, v0
	v_add_u32_e32 v12, -8, v11
	v_cmp_lt_u32_e64 s[2:3], 1, v0
	v_add_u32_e32 v13, -16, v10
	v_add_u32_e32 v14, -16, v11
	v_cmp_lt_u32_e64 s[4:5], 3, v0
	v_subrev_u32_e32 v15, 32, v10
	v_subrev_u32_e32 v16, 32, v11
	v_cmp_lt_u32_e64 s[22:23], 7, v0
	v_subrev_u32_e32 v17, 64, v10
	v_subrev_u32_e32 v18, 64, v11
	v_cmp_lt_u32_e64 s[8:9], 15, v0
	v_add_u32_e32 v19, 0xffffff80, v10
	v_add_u32_e32 v20, 0xffffff80, v11
	v_cmp_lt_u32_e64 s[10:11], 31, v0
	v_add_u32_e32 v21, 0xffffff00, v10
	v_add_u32_e32 v22, 0xffffff00, v11
	;; [unrolled: 3-line block ×3, first 2 shown]
	v_add_u32_e32 v25, 0xfffffc00, v10
	v_add_u32_e32 v26, 0xfffffc00, v11
	;; [unrolled: 1-line block ×5, first 2 shown]
	v_addc_co_u32_e32 v5, vcc, 0, v5, vcc
	v_add_u32_e32 v30, 0xfffff000, v11
	v_cmp_ne_u32_e64 s[20:21], s6, v0
	s_mov_b64 s[24:25], 0
	s_branch .LBB11_4
.LBB11_2:                               ;   in Loop: Header=BB11_4 Depth=1
	global_store_dword v[8:9], v31, off offset:4
.LBB11_3:                               ;   in Loop: Header=BB11_4 Depth=1
	s_or_b64 exec, exec, s[6:7]
	v_add_co_u32_e32 v0, vcc, 0x400, v0
	v_addc_co_u32_e32 v1, vcc, 0, v1, vcc
	v_add_co_u32_e32 v2, vcc, 0x2000, v2
	v_addc_co_u32_e32 v3, vcc, 0, v3, vcc
	v_cmp_le_i64_e64 s[6:7], s[34:35], v[0:1]
	v_add_co_u32_e32 v4, vcc, 0x2000, v4
	s_or_b64 s[24:25], s[6:7], s[24:25]
	v_addc_co_u32_e32 v5, vcc, 0, v5, vcc
	s_waitcnt vmcnt(0)
	s_barrier
	s_andn2_b64 exec, exec, s[24:25]
	s_cbranch_execz .LBB11_51
.LBB11_4:                               ; =>This Inner Loop Header: Depth=1
	global_load_dwordx2 v[31:32], v[4:5], off
	global_load_dwordx2 v[33:34], v[2:3], off
	v_mov_b32_e32 v7, 0
	v_mov_b32_e32 v9, 0
	;; [unrolled: 1-line block ×3, first 2 shown]
	s_waitcnt vmcnt(1)
	ds_write_b64 v10, v[31:32]
	s_waitcnt vmcnt(0)
	ds_write_b64 v11, v[33:34]
	s_waitcnt lgkmcnt(0)
	s_barrier
	s_and_saveexec_b64 s[6:7], s[0:1]
	s_cbranch_execz .LBB11_8
; %bb.5:                                ;   in Loop: Header=BB11_4 Depth=1
	v_add_u32_e32 v6, -8, v10
	ds_read2_b64 v[31:34], v6 offset1:1
	v_mov_b32_e32 v8, 0
	v_mov_b32_e32 v9, 0
	s_waitcnt lgkmcnt(0)
	v_cmp_eq_u64_e32 vcc, v[33:34], v[31:32]
	s_and_saveexec_b64 s[26:27], vcc
; %bb.6:                                ;   in Loop: Header=BB11_4 Depth=1
	ds_read_b64 v[8:9], v12
; %bb.7:                                ;   in Loop: Header=BB11_4 Depth=1
	s_or_b64 exec, exec, s[26:27]
.LBB11_8:                               ;   in Loop: Header=BB11_4 Depth=1
	s_or_b64 exec, exec, s[6:7]
	s_waitcnt lgkmcnt(0)
	s_barrier
	ds_read_b64 v[31:32], v11
	v_mov_b32_e32 v6, 0
	s_waitcnt lgkmcnt(0)
	v_add_f32_e32 v8, v8, v31
	v_add_f32_e32 v9, v9, v32
	ds_write_b64 v11, v[8:9]
	s_waitcnt lgkmcnt(0)
	s_barrier
	s_and_saveexec_b64 s[6:7], s[2:3]
	s_cbranch_execz .LBB11_12
; %bb.9:                                ;   in Loop: Header=BB11_4 Depth=1
	ds_read_b64 v[6:7], v10
	ds_read_b64 v[8:9], v13
	s_waitcnt lgkmcnt(0)
	v_cmp_eq_u64_e32 vcc, v[6:7], v[8:9]
	v_mov_b32_e32 v6, 0
	v_mov_b32_e32 v7, 0
	s_and_saveexec_b64 s[26:27], vcc
; %bb.10:                               ;   in Loop: Header=BB11_4 Depth=1
	ds_read_b64 v[6:7], v14
; %bb.11:                               ;   in Loop: Header=BB11_4 Depth=1
	s_or_b64 exec, exec, s[26:27]
.LBB11_12:                              ;   in Loop: Header=BB11_4 Depth=1
	s_or_b64 exec, exec, s[6:7]
	s_waitcnt lgkmcnt(0)
	s_barrier
	ds_read_b64 v[8:9], v11
	s_waitcnt lgkmcnt(0)
	v_add_f32_e32 v6, v6, v8
	v_add_f32_e32 v7, v7, v9
	ds_write_b64 v11, v[6:7]
	v_mov_b32_e32 v7, 0
	v_mov_b32_e32 v9, 0
	v_mov_b32_e32 v8, 0
	s_waitcnt lgkmcnt(0)
	s_barrier
	s_and_saveexec_b64 s[6:7], s[4:5]
	s_cbranch_execz .LBB11_16
; %bb.13:                               ;   in Loop: Header=BB11_4 Depth=1
	ds_read_b64 v[8:9], v10
	ds_read_b64 v[31:32], v15
	s_waitcnt lgkmcnt(0)
	v_cmp_eq_u64_e32 vcc, v[8:9], v[31:32]
	v_mov_b32_e32 v8, 0
	v_mov_b32_e32 v9, 0
	s_and_saveexec_b64 s[26:27], vcc
; %bb.14:                               ;   in Loop: Header=BB11_4 Depth=1
	ds_read_b64 v[8:9], v16
; %bb.15:                               ;   in Loop: Header=BB11_4 Depth=1
	s_or_b64 exec, exec, s[26:27]
.LBB11_16:                              ;   in Loop: Header=BB11_4 Depth=1
	s_or_b64 exec, exec, s[6:7]
	s_waitcnt lgkmcnt(0)
	s_barrier
	ds_read_b64 v[31:32], v11
	v_mov_b32_e32 v6, 0
	s_waitcnt lgkmcnt(0)
	v_add_f32_e32 v8, v8, v31
	v_add_f32_e32 v9, v9, v32
	ds_write_b64 v11, v[8:9]
	s_waitcnt lgkmcnt(0)
	s_barrier
	s_and_saveexec_b64 s[6:7], s[22:23]
	s_cbranch_execz .LBB11_20
; %bb.17:                               ;   in Loop: Header=BB11_4 Depth=1
	ds_read_b64 v[6:7], v10
	ds_read_b64 v[8:9], v17
	s_waitcnt lgkmcnt(0)
	v_cmp_eq_u64_e32 vcc, v[6:7], v[8:9]
	v_mov_b32_e32 v6, 0
	v_mov_b32_e32 v7, 0
	s_and_saveexec_b64 s[26:27], vcc
; %bb.18:                               ;   in Loop: Header=BB11_4 Depth=1
	ds_read_b64 v[6:7], v18
; %bb.19:                               ;   in Loop: Header=BB11_4 Depth=1
	s_or_b64 exec, exec, s[26:27]
.LBB11_20:                              ;   in Loop: Header=BB11_4 Depth=1
	s_or_b64 exec, exec, s[6:7]
	s_waitcnt lgkmcnt(0)
	s_barrier
	ds_read_b64 v[8:9], v11
	s_waitcnt lgkmcnt(0)
	v_add_f32_e32 v6, v6, v8
	v_add_f32_e32 v7, v7, v9
	ds_write_b64 v11, v[6:7]
	v_mov_b32_e32 v7, 0
	v_mov_b32_e32 v9, 0
	v_mov_b32_e32 v8, 0
	s_waitcnt lgkmcnt(0)
	s_barrier
	s_and_saveexec_b64 s[6:7], s[8:9]
	s_cbranch_execz .LBB11_24
; %bb.21:                               ;   in Loop: Header=BB11_4 Depth=1
	ds_read_b64 v[8:9], v10
	ds_read_b64 v[31:32], v19
	s_waitcnt lgkmcnt(0)
	v_cmp_eq_u64_e32 vcc, v[8:9], v[31:32]
	v_mov_b32_e32 v8, 0
	v_mov_b32_e32 v9, 0
	s_and_saveexec_b64 s[26:27], vcc
; %bb.22:                               ;   in Loop: Header=BB11_4 Depth=1
	ds_read_b64 v[8:9], v20
; %bb.23:                               ;   in Loop: Header=BB11_4 Depth=1
	s_or_b64 exec, exec, s[26:27]
.LBB11_24:                              ;   in Loop: Header=BB11_4 Depth=1
	s_or_b64 exec, exec, s[6:7]
	s_waitcnt lgkmcnt(0)
	s_barrier
	ds_read_b64 v[31:32], v11
	v_mov_b32_e32 v6, 0
	s_waitcnt lgkmcnt(0)
	v_add_f32_e32 v8, v8, v31
	v_add_f32_e32 v9, v9, v32
	ds_write_b64 v11, v[8:9]
	s_waitcnt lgkmcnt(0)
	s_barrier
	s_and_saveexec_b64 s[6:7], s[10:11]
	s_cbranch_execz .LBB11_28
; %bb.25:                               ;   in Loop: Header=BB11_4 Depth=1
	ds_read_b64 v[6:7], v10
	ds_read_b64 v[8:9], v21
	s_waitcnt lgkmcnt(0)
	v_cmp_eq_u64_e32 vcc, v[6:7], v[8:9]
	v_mov_b32_e32 v6, 0
	v_mov_b32_e32 v7, 0
	s_and_saveexec_b64 s[26:27], vcc
; %bb.26:                               ;   in Loop: Header=BB11_4 Depth=1
	ds_read_b64 v[6:7], v22
; %bb.27:                               ;   in Loop: Header=BB11_4 Depth=1
	s_or_b64 exec, exec, s[26:27]
.LBB11_28:                              ;   in Loop: Header=BB11_4 Depth=1
	;; [unrolled: 54-line block ×4, first 2 shown]
	s_or_b64 exec, exec, s[6:7]
	s_waitcnt lgkmcnt(0)
	s_barrier
	ds_read_b64 v[8:9], v11
	s_waitcnt lgkmcnt(0)
	v_add_f32_e32 v6, v6, v8
	v_add_f32_e32 v7, v7, v9
	ds_write_b64 v11, v[6:7]
	s_waitcnt lgkmcnt(0)
	s_barrier
	ds_read_b64 v[6:7], v10
	v_mov_b32_e32 v8, -1
	v_mov_b32_e32 v9, -1
	s_and_saveexec_b64 s[6:7], s[20:21]
; %bb.45:                               ;   in Loop: Header=BB11_4 Depth=1
	ds_read_b64 v[8:9], v10 offset:8
; %bb.46:                               ;   in Loop: Header=BB11_4 Depth=1
	s_or_b64 exec, exec, s[6:7]
	s_waitcnt lgkmcnt(0)
	v_cmp_ne_u64_e32 vcc, v[6:7], v[8:9]
	v_cmp_lt_i64_e64 s[6:7], -1, v[6:7]
	s_and_b64 s[26:27], s[6:7], vcc
	s_and_saveexec_b64 s[6:7], s[26:27]
	s_cbranch_execz .LBB11_3
; %bb.47:                               ;   in Loop: Header=BB11_4 Depth=1
	s_mov_b64 s[26:27], -1
	s_and_b64 vcc, exec, s[36:37]
                                        ; implicit-def: $vgpr31
                                        ; implicit-def: $vgpr8_vgpr9
	s_cbranch_vccz .LBB11_49
; %bb.48:                               ;   in Loop: Header=BB11_4 Depth=1
	v_mul_lo_u32 v31, v7, s30
	v_mul_lo_u32 v32, v6, s31
	v_mad_u64_u32 v[8:9], s[26:27], v6, s30, 0
	ds_read_b64 v[33:34], v11
	s_mov_b64 s[26:27], 0
	v_add3_u32 v9, v9, v32, v31
	v_lshlrev_b64 v[8:9], 3, v[8:9]
	v_mov_b32_e32 v31, s38
	v_add_co_u32_e32 v8, vcc, s33, v8
	v_addc_co_u32_e32 v9, vcc, v31, v9, vcc
	global_load_dwordx2 v[31:32], v[8:9], off
	s_waitcnt vmcnt(0) lgkmcnt(0)
	v_add_f32_e32 v33, v33, v31
	v_add_f32_e32 v31, v34, v32
	global_store_dword v[8:9], v33, off
.LBB11_49:                              ;   in Loop: Header=BB11_4 Depth=1
	s_andn2_b64 vcc, exec, s[26:27]
	s_cbranch_vccnz .LBB11_2
; %bb.50:                               ;   in Loop: Header=BB11_4 Depth=1
	v_lshlrev_b64 v[6:7], 3, v[6:7]
	v_mov_b32_e32 v9, s29
	v_add_co_u32_e32 v8, vcc, s28, v6
	v_addc_co_u32_e32 v9, vcc, v9, v7, vcc
	global_load_dwordx2 v[6:7], v[8:9], off
	ds_read_b64 v[31:32], v11
	s_waitcnt vmcnt(0) lgkmcnt(0)
	v_add_f32_e32 v6, v31, v6
	v_add_f32_e32 v31, v32, v7
	global_store_dword v[8:9], v6, off
	s_branch .LBB11_2
.LBB11_51:
	s_endpgm
	.section	.rodata,"a",@progbits
	.p2align	6, 0x0
	.amdhsa_kernel _ZN9rocsparseL28csrmmnn_general_block_reduceILj1024Ell21rocsparse_complex_numIfES2_EEvT0_PKT1_PKT3_PT2_l16rocsparse_order_
		.amdhsa_group_segment_fixed_size 16384
		.amdhsa_private_segment_fixed_size 0
		.amdhsa_kernarg_size 44
		.amdhsa_user_sgpr_count 6
		.amdhsa_user_sgpr_private_segment_buffer 1
		.amdhsa_user_sgpr_dispatch_ptr 0
		.amdhsa_user_sgpr_queue_ptr 0
		.amdhsa_user_sgpr_kernarg_segment_ptr 1
		.amdhsa_user_sgpr_dispatch_id 0
		.amdhsa_user_sgpr_flat_scratch_init 0
		.amdhsa_user_sgpr_private_segment_size 0
		.amdhsa_uses_dynamic_stack 0
		.amdhsa_system_sgpr_private_segment_wavefront_offset 0
		.amdhsa_system_sgpr_workgroup_id_x 1
		.amdhsa_system_sgpr_workgroup_id_y 0
		.amdhsa_system_sgpr_workgroup_id_z 0
		.amdhsa_system_sgpr_workgroup_info 0
		.amdhsa_system_vgpr_workitem_id 0
		.amdhsa_next_free_vgpr 35
		.amdhsa_next_free_sgpr 61
		.amdhsa_reserve_vcc 1
		.amdhsa_reserve_flat_scratch 0
		.amdhsa_float_round_mode_32 0
		.amdhsa_float_round_mode_16_64 0
		.amdhsa_float_denorm_mode_32 3
		.amdhsa_float_denorm_mode_16_64 3
		.amdhsa_dx10_clamp 1
		.amdhsa_ieee_mode 1
		.amdhsa_fp16_overflow 0
		.amdhsa_exception_fp_ieee_invalid_op 0
		.amdhsa_exception_fp_denorm_src 0
		.amdhsa_exception_fp_ieee_div_zero 0
		.amdhsa_exception_fp_ieee_overflow 0
		.amdhsa_exception_fp_ieee_underflow 0
		.amdhsa_exception_fp_ieee_inexact 0
		.amdhsa_exception_int_div_zero 0
	.end_amdhsa_kernel
	.section	.text._ZN9rocsparseL28csrmmnn_general_block_reduceILj1024Ell21rocsparse_complex_numIfES2_EEvT0_PKT1_PKT3_PT2_l16rocsparse_order_,"axG",@progbits,_ZN9rocsparseL28csrmmnn_general_block_reduceILj1024Ell21rocsparse_complex_numIfES2_EEvT0_PKT1_PKT3_PT2_l16rocsparse_order_,comdat
.Lfunc_end11:
	.size	_ZN9rocsparseL28csrmmnn_general_block_reduceILj1024Ell21rocsparse_complex_numIfES2_EEvT0_PKT1_PKT3_PT2_l16rocsparse_order_, .Lfunc_end11-_ZN9rocsparseL28csrmmnn_general_block_reduceILj1024Ell21rocsparse_complex_numIfES2_EEvT0_PKT1_PKT3_PT2_l16rocsparse_order_
                                        ; -- End function
	.set _ZN9rocsparseL28csrmmnn_general_block_reduceILj1024Ell21rocsparse_complex_numIfES2_EEvT0_PKT1_PKT3_PT2_l16rocsparse_order_.num_vgpr, 35
	.set _ZN9rocsparseL28csrmmnn_general_block_reduceILj1024Ell21rocsparse_complex_numIfES2_EEvT0_PKT1_PKT3_PT2_l16rocsparse_order_.num_agpr, 0
	.set _ZN9rocsparseL28csrmmnn_general_block_reduceILj1024Ell21rocsparse_complex_numIfES2_EEvT0_PKT1_PKT3_PT2_l16rocsparse_order_.numbered_sgpr, 39
	.set _ZN9rocsparseL28csrmmnn_general_block_reduceILj1024Ell21rocsparse_complex_numIfES2_EEvT0_PKT1_PKT3_PT2_l16rocsparse_order_.num_named_barrier, 0
	.set _ZN9rocsparseL28csrmmnn_general_block_reduceILj1024Ell21rocsparse_complex_numIfES2_EEvT0_PKT1_PKT3_PT2_l16rocsparse_order_.private_seg_size, 0
	.set _ZN9rocsparseL28csrmmnn_general_block_reduceILj1024Ell21rocsparse_complex_numIfES2_EEvT0_PKT1_PKT3_PT2_l16rocsparse_order_.uses_vcc, 1
	.set _ZN9rocsparseL28csrmmnn_general_block_reduceILj1024Ell21rocsparse_complex_numIfES2_EEvT0_PKT1_PKT3_PT2_l16rocsparse_order_.uses_flat_scratch, 0
	.set _ZN9rocsparseL28csrmmnn_general_block_reduceILj1024Ell21rocsparse_complex_numIfES2_EEvT0_PKT1_PKT3_PT2_l16rocsparse_order_.has_dyn_sized_stack, 0
	.set _ZN9rocsparseL28csrmmnn_general_block_reduceILj1024Ell21rocsparse_complex_numIfES2_EEvT0_PKT1_PKT3_PT2_l16rocsparse_order_.has_recursion, 0
	.set _ZN9rocsparseL28csrmmnn_general_block_reduceILj1024Ell21rocsparse_complex_numIfES2_EEvT0_PKT1_PKT3_PT2_l16rocsparse_order_.has_indirect_call, 0
	.section	.AMDGPU.csdata,"",@progbits
; Kernel info:
; codeLenInByte = 1912
; TotalNumSgprs: 43
; NumVgprs: 35
; ScratchSize: 0
; MemoryBound: 0
; FloatMode: 240
; IeeeMode: 1
; LDSByteSize: 16384 bytes/workgroup (compile time only)
; SGPRBlocks: 8
; VGPRBlocks: 8
; NumSGPRsForWavesPerEU: 65
; NumVGPRsForWavesPerEU: 35
; Occupancy: 7
; WaveLimiterHint : 0
; COMPUTE_PGM_RSRC2:SCRATCH_EN: 0
; COMPUTE_PGM_RSRC2:USER_SGPR: 6
; COMPUTE_PGM_RSRC2:TRAP_HANDLER: 0
; COMPUTE_PGM_RSRC2:TGID_X_EN: 1
; COMPUTE_PGM_RSRC2:TGID_Y_EN: 0
; COMPUTE_PGM_RSRC2:TGID_Z_EN: 0
; COMPUTE_PGM_RSRC2:TIDIG_COMP_CNT: 0
	.section	.text._ZN9rocsparseL28csrmmnn_general_block_reduceILj1024Eii21rocsparse_complex_numIdES2_EEvT0_PKT1_PKT3_PT2_l16rocsparse_order_,"axG",@progbits,_ZN9rocsparseL28csrmmnn_general_block_reduceILj1024Eii21rocsparse_complex_numIdES2_EEvT0_PKT1_PKT3_PT2_l16rocsparse_order_,comdat
	.globl	_ZN9rocsparseL28csrmmnn_general_block_reduceILj1024Eii21rocsparse_complex_numIdES2_EEvT0_PKT1_PKT3_PT2_l16rocsparse_order_ ; -- Begin function _ZN9rocsparseL28csrmmnn_general_block_reduceILj1024Eii21rocsparse_complex_numIdES2_EEvT0_PKT1_PKT3_PT2_l16rocsparse_order_
	.p2align	8
	.type	_ZN9rocsparseL28csrmmnn_general_block_reduceILj1024Eii21rocsparse_complex_numIdES2_EEvT0_PKT1_PKT3_PT2_l16rocsparse_order_,@function
_ZN9rocsparseL28csrmmnn_general_block_reduceILj1024Eii21rocsparse_complex_numIdES2_EEvT0_PKT1_PKT3_PT2_l16rocsparse_order_: ; @_ZN9rocsparseL28csrmmnn_general_block_reduceILj1024Eii21rocsparse_complex_numIdES2_EEvT0_PKT1_PKT3_PT2_l16rocsparse_order_
; %bb.0:
	s_load_dword s33, s[4:5], 0x0
	v_lshlrev_b32_e32 v5, 2, v0
	v_mov_b32_e32 v1, -1
	v_mov_b32_e32 v2, 0
	ds_write_b32 v5, v1 offset:16384
	v_lshlrev_b32_e32 v11, 4, v0
	v_mov_b32_e32 v1, v2
	v_mov_b32_e32 v3, v2
	v_mov_b32_e32 v4, v2
	s_waitcnt lgkmcnt(0)
	v_cmp_gt_i32_e32 vcc, s33, v0
	ds_write_b128 v11, v[1:4]
	s_waitcnt lgkmcnt(0)
	s_barrier
	s_and_saveexec_b64 s[0:1], vcc
	s_cbranch_execz .LBB12_50
; %bb.1:
	s_load_dword s7, s[4:5], 0x28
	s_load_dwordx8 s[24:31], s[4:5], 0x8
	s_mul_i32 s38, s33, s6
	v_or_b32_e32 v12, 0x4000, v5
	s_movk_i32 s14, 0x7f
	s_waitcnt lgkmcnt(0)
	s_cmp_lg_u32 s7, 1
	s_cselect_b64 s[34:35], -1, 0
	s_ashr_i32 s7, s6, 31
	s_lshl_b64 s[36:37], s[6:7], 4
	s_add_u32 s39, s28, s36
	s_mul_hi_u32 s36, s30, s6
	s_mul_i32 s7, s30, s7
	s_addc_u32 s40, s29, s37
	s_add_i32 s7, s36, s7
	s_mul_i32 s36, s31, s6
	s_add_i32 s7, s7, s36
	s_mul_i32 s6, s30, s6
	s_lshl_b64 s[6:7], s[6:7], 4
	s_movk_i32 s16, 0xff
	s_movk_i32 s18, 0x1ff
	;; [unrolled: 1-line block ×3, first 2 shown]
	s_add_u32 s41, s28, s6
	v_cmp_ne_u32_e64 s[0:1], 0, v0
	v_cmp_lt_u32_e64 s[2:3], 1, v0
	v_subrev_u32_e32 v13, 32, v11
	v_cmp_lt_u32_e64 s[4:5], 3, v0
	v_add_u32_e32 v14, -16, v12
	v_subrev_u32_e32 v15, 64, v11
	v_cmp_lt_u32_e64 s[22:23], 7, v0
	v_subrev_u32_e32 v16, 32, v12
	v_add_u32_e32 v17, 0xffffff80, v11
	v_cmp_lt_u32_e64 s[8:9], 15, v0
	v_subrev_u32_e32 v18, 64, v12
	v_add_u32_e32 v19, 0xffffff00, v11
	v_cmp_lt_u32_e64 s[10:11], 31, v0
	v_add_u32_e32 v20, 0xffffff80, v12
	v_add_u32_e32 v21, 0xfffffe00, v11
	v_cmp_lt_u32_e64 s[12:13], 63, v0
	v_add_u32_e32 v22, 0xffffff00, v12
	;; [unrolled: 3-line block ×5, first 2 shown]
	v_add_u32_e32 v29, 0xffffe000, v11
	v_cmp_ne_u32_e64 s[20:21], s20, v0
	s_addc_u32 s42, s29, s7
	s_mov_b64 s[28:29], 0
	v_mov_b32_e32 v30, s25
	v_mov_b32_e32 v31, s27
	s_branch .LBB12_3
.LBB12_2:                               ;   in Loop: Header=BB12_3 Depth=1
	s_or_b64 exec, exec, s[6:7]
	v_add_u32_e32 v0, 0x400, v0
	v_cmp_le_i32_e32 vcc, s33, v0
	s_or_b64 s[28:29], vcc, s[28:29]
	s_waitcnt vmcnt(0)
	s_barrier
	s_andn2_b64 exec, exec, s[28:29]
	s_cbranch_execz .LBB12_50
.LBB12_3:                               ; =>This Inner Loop Header: Depth=1
	v_ashrrev_i32_e32 v1, 31, v0
	v_lshlrev_b64 v[3:4], 2, v[0:1]
	v_mov_b32_e32 v9, 0
	v_add_co_u32_e32 v3, vcc, s24, v3
	v_addc_co_u32_e32 v4, vcc, v30, v4, vcc
	global_load_dword v1, v[3:4], off
	v_add_u32_e32 v3, s38, v0
	v_ashrrev_i32_e32 v4, 31, v3
	v_lshlrev_b64 v[3:4], 4, v[3:4]
	v_mov_b32_e32 v7, 0
	v_add_co_u32_e32 v3, vcc, s26, v3
	v_addc_co_u32_e32 v4, vcc, v31, v4, vcc
	global_load_dwordx4 v[3:6], v[3:4], off
	v_mov_b32_e32 v10, 0
	v_mov_b32_e32 v8, 0
	s_waitcnt vmcnt(1)
	ds_write_b32 v12, v1
	s_waitcnt vmcnt(0)
	ds_write2_b64 v11, v[3:4], v[5:6] offset1:1
	v_mov_b32_e32 v5, 0
	v_mov_b32_e32 v6, 0
	s_waitcnt lgkmcnt(0)
	s_barrier
	s_and_saveexec_b64 s[6:7], s[0:1]
	s_cbranch_execz .LBB12_7
; %bb.4:                                ;   in Loop: Header=BB12_3 Depth=1
	v_add_u32_e32 v1, -4, v12
	ds_read2_b32 v[3:4], v1 offset1:1
	v_mov_b32_e32 v7, 0
	v_mov_b32_e32 v9, 0
	;; [unrolled: 1-line block ×4, first 2 shown]
	s_waitcnt lgkmcnt(0)
	v_cmp_eq_u32_e32 vcc, v4, v3
	s_and_saveexec_b64 s[36:37], vcc
; %bb.5:                                ;   in Loop: Header=BB12_3 Depth=1
	v_add_u32_e32 v1, -16, v11
	ds_read_b128 v[7:10], v1
; %bb.6:                                ;   in Loop: Header=BB12_3 Depth=1
	s_or_b64 exec, exec, s[36:37]
.LBB12_7:                               ;   in Loop: Header=BB12_3 Depth=1
	s_or_b64 exec, exec, s[6:7]
	s_waitcnt lgkmcnt(0)
	s_barrier
	ds_read_b128 v[32:35], v11
	v_mov_b32_e32 v3, 0
	v_mov_b32_e32 v4, 0
	s_waitcnt lgkmcnt(0)
	v_add_f64 v[7:8], v[7:8], v[32:33]
	v_add_f64 v[9:10], v[9:10], v[34:35]
	ds_write_b128 v11, v[7:10]
	s_waitcnt lgkmcnt(0)
	s_barrier
	s_and_saveexec_b64 s[6:7], s[2:3]
	s_cbranch_execz .LBB12_11
; %bb.8:                                ;   in Loop: Header=BB12_3 Depth=1
	v_add_u32_e32 v1, -8, v12
	ds_read_b32 v7, v12
	ds_read_b32 v1, v1
	v_mov_b32_e32 v3, 0
	v_mov_b32_e32 v5, 0
	;; [unrolled: 1-line block ×4, first 2 shown]
	s_waitcnt lgkmcnt(0)
	v_cmp_eq_u32_e32 vcc, v7, v1
	s_and_saveexec_b64 s[36:37], vcc
; %bb.9:                                ;   in Loop: Header=BB12_3 Depth=1
	ds_read_b128 v[3:6], v13
; %bb.10:                               ;   in Loop: Header=BB12_3 Depth=1
	s_or_b64 exec, exec, s[36:37]
.LBB12_11:                              ;   in Loop: Header=BB12_3 Depth=1
	s_or_b64 exec, exec, s[6:7]
	s_waitcnt lgkmcnt(0)
	s_barrier
	ds_read_b128 v[7:10], v11
	s_waitcnt lgkmcnt(0)
	v_add_f64 v[32:33], v[3:4], v[7:8]
	v_add_f64 v[34:35], v[5:6], v[9:10]
	v_mov_b32_e32 v5, 0
	v_mov_b32_e32 v9, 0
	v_mov_b32_e32 v7, 0
	v_mov_b32_e32 v6, 0
	v_mov_b32_e32 v10, 0
	v_mov_b32_e32 v8, 0
	ds_write_b128 v11, v[32:35]
	s_waitcnt lgkmcnt(0)
	s_barrier
	s_and_saveexec_b64 s[6:7], s[4:5]
	s_cbranch_execz .LBB12_15
; %bb.12:                               ;   in Loop: Header=BB12_3 Depth=1
	ds_read_b32 v1, v12
	ds_read_b32 v3, v14
	v_mov_b32_e32 v7, 0
	v_mov_b32_e32 v9, 0
	v_mov_b32_e32 v8, 0
	v_mov_b32_e32 v10, 0
	s_waitcnt lgkmcnt(0)
	v_cmp_eq_u32_e32 vcc, v1, v3
	s_and_saveexec_b64 s[36:37], vcc
; %bb.13:                               ;   in Loop: Header=BB12_3 Depth=1
	ds_read_b128 v[7:10], v15
; %bb.14:                               ;   in Loop: Header=BB12_3 Depth=1
	s_or_b64 exec, exec, s[36:37]
.LBB12_15:                              ;   in Loop: Header=BB12_3 Depth=1
	s_or_b64 exec, exec, s[6:7]
	s_waitcnt lgkmcnt(0)
	s_barrier
	ds_read_b128 v[32:35], v11
	v_mov_b32_e32 v3, 0
	v_mov_b32_e32 v4, 0
	s_waitcnt lgkmcnt(0)
	v_add_f64 v[7:8], v[7:8], v[32:33]
	v_add_f64 v[9:10], v[9:10], v[34:35]
	ds_write_b128 v11, v[7:10]
	s_waitcnt lgkmcnt(0)
	s_barrier
	s_and_saveexec_b64 s[6:7], s[22:23]
	s_cbranch_execz .LBB12_19
; %bb.16:                               ;   in Loop: Header=BB12_3 Depth=1
	ds_read_b32 v1, v12
	ds_read_b32 v7, v16
	v_mov_b32_e32 v3, 0
	v_mov_b32_e32 v5, 0
	v_mov_b32_e32 v4, 0
	v_mov_b32_e32 v6, 0
	s_waitcnt lgkmcnt(0)
	v_cmp_eq_u32_e32 vcc, v1, v7
	s_and_saveexec_b64 s[36:37], vcc
; %bb.17:                               ;   in Loop: Header=BB12_3 Depth=1
	ds_read_b128 v[3:6], v17
; %bb.18:                               ;   in Loop: Header=BB12_3 Depth=1
	s_or_b64 exec, exec, s[36:37]
.LBB12_19:                              ;   in Loop: Header=BB12_3 Depth=1
	s_or_b64 exec, exec, s[6:7]
	s_waitcnt lgkmcnt(0)
	s_barrier
	ds_read_b128 v[7:10], v11
	s_waitcnt lgkmcnt(0)
	v_add_f64 v[32:33], v[3:4], v[7:8]
	v_add_f64 v[34:35], v[5:6], v[9:10]
	v_mov_b32_e32 v5, 0
	v_mov_b32_e32 v9, 0
	v_mov_b32_e32 v7, 0
	v_mov_b32_e32 v6, 0
	v_mov_b32_e32 v10, 0
	v_mov_b32_e32 v8, 0
	ds_write_b128 v11, v[32:35]
	s_waitcnt lgkmcnt(0)
	s_barrier
	s_and_saveexec_b64 s[6:7], s[8:9]
	s_cbranch_execz .LBB12_23
; %bb.20:                               ;   in Loop: Header=BB12_3 Depth=1
	ds_read_b32 v1, v12
	ds_read_b32 v3, v18
	v_mov_b32_e32 v7, 0
	v_mov_b32_e32 v9, 0
	v_mov_b32_e32 v8, 0
	v_mov_b32_e32 v10, 0
	s_waitcnt lgkmcnt(0)
	v_cmp_eq_u32_e32 vcc, v1, v3
	s_and_saveexec_b64 s[36:37], vcc
; %bb.21:                               ;   in Loop: Header=BB12_3 Depth=1
	ds_read_b128 v[7:10], v19
; %bb.22:                               ;   in Loop: Header=BB12_3 Depth=1
	s_or_b64 exec, exec, s[36:37]
.LBB12_23:                              ;   in Loop: Header=BB12_3 Depth=1
	s_or_b64 exec, exec, s[6:7]
	s_waitcnt lgkmcnt(0)
	s_barrier
	ds_read_b128 v[32:35], v11
	v_mov_b32_e32 v3, 0
	v_mov_b32_e32 v4, 0
	s_waitcnt lgkmcnt(0)
	v_add_f64 v[7:8], v[7:8], v[32:33]
	v_add_f64 v[9:10], v[9:10], v[34:35]
	ds_write_b128 v11, v[7:10]
	s_waitcnt lgkmcnt(0)
	s_barrier
	s_and_saveexec_b64 s[6:7], s[10:11]
	s_cbranch_execz .LBB12_27
; %bb.24:                               ;   in Loop: Header=BB12_3 Depth=1
	ds_read_b32 v1, v12
	ds_read_b32 v7, v20
	v_mov_b32_e32 v3, 0
	v_mov_b32_e32 v5, 0
	v_mov_b32_e32 v4, 0
	v_mov_b32_e32 v6, 0
	s_waitcnt lgkmcnt(0)
	v_cmp_eq_u32_e32 vcc, v1, v7
	s_and_saveexec_b64 s[36:37], vcc
; %bb.25:                               ;   in Loop: Header=BB12_3 Depth=1
	ds_read_b128 v[3:6], v21
; %bb.26:                               ;   in Loop: Header=BB12_3 Depth=1
	s_or_b64 exec, exec, s[36:37]
.LBB12_27:                              ;   in Loop: Header=BB12_3 Depth=1
	;; [unrolled: 62-line block ×4, first 2 shown]
	s_or_b64 exec, exec, s[6:7]
	s_waitcnt lgkmcnt(0)
	s_barrier
	ds_read_b128 v[7:10], v11
	s_waitcnt lgkmcnt(0)
	v_add_f64 v[3:4], v[3:4], v[7:8]
	v_add_f64 v[5:6], v[5:6], v[9:10]
	ds_write_b128 v11, v[3:6]
	s_waitcnt lgkmcnt(0)
	s_barrier
	ds_read_b32 v1, v12
	v_mov_b32_e32 v3, -1
	s_and_saveexec_b64 s[6:7], s[20:21]
; %bb.44:                               ;   in Loop: Header=BB12_3 Depth=1
	ds_read_b32 v3, v12 offset:4
; %bb.45:                               ;   in Loop: Header=BB12_3 Depth=1
	s_or_b64 exec, exec, s[6:7]
	s_waitcnt lgkmcnt(0)
	v_cmp_ne_u32_e32 vcc, v1, v3
	v_cmp_lt_i32_e64 s[6:7], -1, v1
	s_and_b64 s[36:37], s[6:7], vcc
	s_and_saveexec_b64 s[6:7], s[36:37]
	s_cbranch_execz .LBB12_2
; %bb.46:                               ;   in Loop: Header=BB12_3 Depth=1
	s_mov_b64 s[36:37], -1
	s_and_b64 vcc, exec, s[34:35]
	s_cbranch_vccz .LBB12_48
; %bb.47:                               ;   in Loop: Header=BB12_3 Depth=1
	v_mad_u64_u32 v[3:4], s[36:37], s30, v1, 0
	ds_read_b128 v[7:10], v11
	v_mad_u64_u32 v[4:5], s[36:37], s31, v1, v[4:5]
	v_mov_b32_e32 v5, s40
	s_mov_b64 s[36:37], 0
	v_lshlrev_b64 v[3:4], 4, v[3:4]
	v_add_co_u32_e32 v32, vcc, s39, v3
	v_addc_co_u32_e32 v33, vcc, v5, v4, vcc
	global_load_dwordx4 v[3:6], v[32:33], off
	s_waitcnt vmcnt(0) lgkmcnt(0)
	v_add_f64 v[3:4], v[7:8], v[3:4]
	v_add_f64 v[5:6], v[9:10], v[5:6]
	global_store_dwordx4 v[32:33], v[3:6], off
.LBB12_48:                              ;   in Loop: Header=BB12_3 Depth=1
	s_andn2_b64 vcc, exec, s[36:37]
	s_cbranch_vccnz .LBB12_2
; %bb.49:                               ;   in Loop: Header=BB12_3 Depth=1
	v_lshlrev_b64 v[3:4], 4, v[1:2]
	v_mov_b32_e32 v1, s42
	v_add_co_u32_e32 v32, vcc, s41, v3
	v_addc_co_u32_e32 v33, vcc, v1, v4, vcc
	global_load_dwordx4 v[3:6], v[32:33], off
	ds_read_b128 v[7:10], v11
	s_waitcnt vmcnt(0) lgkmcnt(0)
	v_add_f64 v[3:4], v[7:8], v[3:4]
	v_add_f64 v[5:6], v[9:10], v[5:6]
	global_store_dwordx4 v[32:33], v[3:6], off
	s_branch .LBB12_2
.LBB12_50:
	s_endpgm
	.section	.rodata,"a",@progbits
	.p2align	6, 0x0
	.amdhsa_kernel _ZN9rocsparseL28csrmmnn_general_block_reduceILj1024Eii21rocsparse_complex_numIdES2_EEvT0_PKT1_PKT3_PT2_l16rocsparse_order_
		.amdhsa_group_segment_fixed_size 20480
		.amdhsa_private_segment_fixed_size 0
		.amdhsa_kernarg_size 44
		.amdhsa_user_sgpr_count 6
		.amdhsa_user_sgpr_private_segment_buffer 1
		.amdhsa_user_sgpr_dispatch_ptr 0
		.amdhsa_user_sgpr_queue_ptr 0
		.amdhsa_user_sgpr_kernarg_segment_ptr 1
		.amdhsa_user_sgpr_dispatch_id 0
		.amdhsa_user_sgpr_flat_scratch_init 0
		.amdhsa_user_sgpr_private_segment_size 0
		.amdhsa_uses_dynamic_stack 0
		.amdhsa_system_sgpr_private_segment_wavefront_offset 0
		.amdhsa_system_sgpr_workgroup_id_x 1
		.amdhsa_system_sgpr_workgroup_id_y 0
		.amdhsa_system_sgpr_workgroup_id_z 0
		.amdhsa_system_sgpr_workgroup_info 0
		.amdhsa_system_vgpr_workitem_id 0
		.amdhsa_next_free_vgpr 36
		.amdhsa_next_free_sgpr 61
		.amdhsa_reserve_vcc 1
		.amdhsa_reserve_flat_scratch 0
		.amdhsa_float_round_mode_32 0
		.amdhsa_float_round_mode_16_64 0
		.amdhsa_float_denorm_mode_32 3
		.amdhsa_float_denorm_mode_16_64 3
		.amdhsa_dx10_clamp 1
		.amdhsa_ieee_mode 1
		.amdhsa_fp16_overflow 0
		.amdhsa_exception_fp_ieee_invalid_op 0
		.amdhsa_exception_fp_denorm_src 0
		.amdhsa_exception_fp_ieee_div_zero 0
		.amdhsa_exception_fp_ieee_overflow 0
		.amdhsa_exception_fp_ieee_underflow 0
		.amdhsa_exception_fp_ieee_inexact 0
		.amdhsa_exception_int_div_zero 0
	.end_amdhsa_kernel
	.section	.text._ZN9rocsparseL28csrmmnn_general_block_reduceILj1024Eii21rocsparse_complex_numIdES2_EEvT0_PKT1_PKT3_PT2_l16rocsparse_order_,"axG",@progbits,_ZN9rocsparseL28csrmmnn_general_block_reduceILj1024Eii21rocsparse_complex_numIdES2_EEvT0_PKT1_PKT3_PT2_l16rocsparse_order_,comdat
.Lfunc_end12:
	.size	_ZN9rocsparseL28csrmmnn_general_block_reduceILj1024Eii21rocsparse_complex_numIdES2_EEvT0_PKT1_PKT3_PT2_l16rocsparse_order_, .Lfunc_end12-_ZN9rocsparseL28csrmmnn_general_block_reduceILj1024Eii21rocsparse_complex_numIdES2_EEvT0_PKT1_PKT3_PT2_l16rocsparse_order_
                                        ; -- End function
	.set _ZN9rocsparseL28csrmmnn_general_block_reduceILj1024Eii21rocsparse_complex_numIdES2_EEvT0_PKT1_PKT3_PT2_l16rocsparse_order_.num_vgpr, 36
	.set _ZN9rocsparseL28csrmmnn_general_block_reduceILj1024Eii21rocsparse_complex_numIdES2_EEvT0_PKT1_PKT3_PT2_l16rocsparse_order_.num_agpr, 0
	.set _ZN9rocsparseL28csrmmnn_general_block_reduceILj1024Eii21rocsparse_complex_numIdES2_EEvT0_PKT1_PKT3_PT2_l16rocsparse_order_.numbered_sgpr, 43
	.set _ZN9rocsparseL28csrmmnn_general_block_reduceILj1024Eii21rocsparse_complex_numIdES2_EEvT0_PKT1_PKT3_PT2_l16rocsparse_order_.num_named_barrier, 0
	.set _ZN9rocsparseL28csrmmnn_general_block_reduceILj1024Eii21rocsparse_complex_numIdES2_EEvT0_PKT1_PKT3_PT2_l16rocsparse_order_.private_seg_size, 0
	.set _ZN9rocsparseL28csrmmnn_general_block_reduceILj1024Eii21rocsparse_complex_numIdES2_EEvT0_PKT1_PKT3_PT2_l16rocsparse_order_.uses_vcc, 1
	.set _ZN9rocsparseL28csrmmnn_general_block_reduceILj1024Eii21rocsparse_complex_numIdES2_EEvT0_PKT1_PKT3_PT2_l16rocsparse_order_.uses_flat_scratch, 0
	.set _ZN9rocsparseL28csrmmnn_general_block_reduceILj1024Eii21rocsparse_complex_numIdES2_EEvT0_PKT1_PKT3_PT2_l16rocsparse_order_.has_dyn_sized_stack, 0
	.set _ZN9rocsparseL28csrmmnn_general_block_reduceILj1024Eii21rocsparse_complex_numIdES2_EEvT0_PKT1_PKT3_PT2_l16rocsparse_order_.has_recursion, 0
	.set _ZN9rocsparseL28csrmmnn_general_block_reduceILj1024Eii21rocsparse_complex_numIdES2_EEvT0_PKT1_PKT3_PT2_l16rocsparse_order_.has_indirect_call, 0
	.section	.AMDGPU.csdata,"",@progbits
; Kernel info:
; codeLenInByte = 2128
; TotalNumSgprs: 47
; NumVgprs: 36
; ScratchSize: 0
; MemoryBound: 0
; FloatMode: 240
; IeeeMode: 1
; LDSByteSize: 20480 bytes/workgroup (compile time only)
; SGPRBlocks: 8
; VGPRBlocks: 8
; NumSGPRsForWavesPerEU: 65
; NumVGPRsForWavesPerEU: 36
; Occupancy: 7
; WaveLimiterHint : 0
; COMPUTE_PGM_RSRC2:SCRATCH_EN: 0
; COMPUTE_PGM_RSRC2:USER_SGPR: 6
; COMPUTE_PGM_RSRC2:TRAP_HANDLER: 0
; COMPUTE_PGM_RSRC2:TGID_X_EN: 1
; COMPUTE_PGM_RSRC2:TGID_Y_EN: 0
; COMPUTE_PGM_RSRC2:TGID_Z_EN: 0
; COMPUTE_PGM_RSRC2:TIDIG_COMP_CNT: 0
	.section	.text._ZN9rocsparseL28csrmmnn_general_block_reduceILj1024Eli21rocsparse_complex_numIdES2_EEvT0_PKT1_PKT3_PT2_l16rocsparse_order_,"axG",@progbits,_ZN9rocsparseL28csrmmnn_general_block_reduceILj1024Eli21rocsparse_complex_numIdES2_EEvT0_PKT1_PKT3_PT2_l16rocsparse_order_,comdat
	.globl	_ZN9rocsparseL28csrmmnn_general_block_reduceILj1024Eli21rocsparse_complex_numIdES2_EEvT0_PKT1_PKT3_PT2_l16rocsparse_order_ ; -- Begin function _ZN9rocsparseL28csrmmnn_general_block_reduceILj1024Eli21rocsparse_complex_numIdES2_EEvT0_PKT1_PKT3_PT2_l16rocsparse_order_
	.p2align	8
	.type	_ZN9rocsparseL28csrmmnn_general_block_reduceILj1024Eli21rocsparse_complex_numIdES2_EEvT0_PKT1_PKT3_PT2_l16rocsparse_order_,@function
_ZN9rocsparseL28csrmmnn_general_block_reduceILj1024Eli21rocsparse_complex_numIdES2_EEvT0_PKT1_PKT3_PT2_l16rocsparse_order_: ; @_ZN9rocsparseL28csrmmnn_general_block_reduceILj1024Eli21rocsparse_complex_numIdES2_EEvT0_PKT1_PKT3_PT2_l16rocsparse_order_
; %bb.0:
	s_load_dwordx2 s[34:35], s[4:5], 0x0
	v_mov_b32_e32 v1, 0
	v_mov_b32_e32 v3, -1
	v_lshlrev_b32_e32 v2, 3, v0
	v_mov_b32_e32 v4, v3
	s_waitcnt lgkmcnt(0)
	v_cmp_gt_i64_e32 vcc, s[34:35], v[0:1]
	ds_write_b64 v2, v[3:4] offset:16384
	v_lshlrev_b32_e32 v14, 4, v0
	s_mov_b32 s7, 0
	v_mov_b32_e32 v3, v1
	v_mov_b32_e32 v4, v1
	;; [unrolled: 1-line block ×4, first 2 shown]
	ds_write_b128 v14, v[3:6]
	s_waitcnt lgkmcnt(0)
	s_barrier
	s_and_saveexec_b64 s[0:1], vcc
	s_cbranch_execz .LBB13_50
; %bb.1:
	s_load_dwordx8 s[24:31], s[4:5], 0x8
	s_load_dword s20, s[4:5], 0x28
	s_lshl_b64 s[2:3], s[6:7], 4
	s_movk_i32 s7, 0x7f
	v_cmp_lt_u32_e64 s[14:15], s7, v0
	s_waitcnt lgkmcnt(0)
	s_add_u32 s33, s28, s2
	s_movk_i32 s7, 0xff
	s_addc_u32 s38, s29, s3
	v_cmp_lt_u32_e64 s[16:17], s7, v0
	s_movk_i32 s7, 0x1ff
	v_cmp_lt_u32_e64 s[18:19], s7, v0
	s_cmp_lg_u32 s20, 1
	s_mul_i32 s7, s31, s6
	s_mul_hi_u32 s20, s30, s6
	s_cselect_b64 s[36:37], -1, 0
	s_add_i32 s21, s20, s7
	s_mul_i32 s20, s30, s6
	s_lshl_b64 s[20:21], s[20:21], 4
	s_add_u32 s28, s28, s20
	s_mul_i32 s7, s35, s6
	s_mul_hi_u32 s20, s34, s6
	s_addc_u32 s29, s29, s21
	s_add_i32 s7, s20, s7
	s_mul_i32 s6, s34, s6
	s_lshl_b64 s[6:7], s[6:7], 4
	s_add_u32 s6, s26, s6
	v_or_b32_e32 v15, 0x4000, v2
	v_lshlrev_b32_e32 v2, 4, v0
	s_addc_u32 s7, s27, s7
	v_mov_b32_e32 v3, s7
	v_add_co_u32_e32 v10, vcc, s6, v2
	v_addc_co_u32_e32 v11, vcc, 0, v3, vcc
	v_lshlrev_b32_e32 v2, 2, v0
	v_mov_b32_e32 v3, s25
	v_add_co_u32_e32 v12, vcc, s24, v2
	s_movk_i32 s6, 0x3ff
	v_cmp_ne_u32_e64 s[0:1], 0, v0
	v_cmp_lt_u32_e64 s[2:3], 1, v0
	v_add_u32_e32 v16, -16, v15
	v_subrev_u32_e32 v17, 32, v14
	v_cmp_lt_u32_e64 s[4:5], 3, v0
	v_subrev_u32_e32 v18, 32, v15
	v_subrev_u32_e32 v19, 64, v14
	v_cmp_lt_u32_e64 s[22:23], 7, v0
	v_subrev_u32_e32 v20, 64, v15
	v_add_u32_e32 v21, 0xffffff80, v14
	v_cmp_lt_u32_e64 s[8:9], 15, v0
	v_add_u32_e32 v22, 0xffffff80, v15
	v_add_u32_e32 v23, 0xffffff00, v14
	v_cmp_lt_u32_e64 s[10:11], 31, v0
	v_add_u32_e32 v24, 0xffffff00, v15
	;; [unrolled: 3-line block ×3, first 2 shown]
	v_add_u32_e32 v27, 0xfffffc00, v14
	v_add_u32_e32 v28, 0xfffffc00, v15
	;; [unrolled: 1-line block ×6, first 2 shown]
	v_addc_co_u32_e32 v13, vcc, 0, v3, vcc
	v_add_u32_e32 v33, 0xffffe000, v14
	v_cmp_ne_u32_e64 s[20:21], s6, v0
	s_mov_b64 s[24:25], 0
	s_branch .LBB13_3
.LBB13_2:                               ;   in Loop: Header=BB13_3 Depth=1
	s_or_b64 exec, exec, s[6:7]
	v_add_co_u32_e32 v0, vcc, 0x400, v0
	v_addc_co_u32_e32 v1, vcc, 0, v1, vcc
	v_add_co_u32_e32 v10, vcc, 0x4000, v10
	v_addc_co_u32_e32 v11, vcc, 0, v11, vcc
	v_cmp_le_i64_e64 s[6:7], s[34:35], v[0:1]
	v_add_co_u32_e32 v12, vcc, 0x1000, v12
	s_or_b64 s[24:25], s[6:7], s[24:25]
	v_addc_co_u32_e32 v13, vcc, 0, v13, vcc
	s_waitcnt vmcnt(0)
	s_barrier
	s_andn2_b64 exec, exec, s[24:25]
	s_cbranch_execz .LBB13_50
.LBB13_3:                               ; =>This Inner Loop Header: Depth=1
	global_load_dword v2, v[12:13], off
	v_mov_b32_e32 v8, 0
	v_mov_b32_e32 v6, 0
	;; [unrolled: 1-line block ×4, first 2 shown]
	s_waitcnt vmcnt(0)
	v_ashrrev_i32_e32 v3, 31, v2
	ds_write_b64 v15, v[2:3]
	global_load_dwordx4 v[2:5], v[10:11], off
	s_waitcnt vmcnt(0)
	ds_write2_b64 v14, v[2:3], v[4:5] offset1:1
	v_mov_b32_e32 v4, 0
	v_mov_b32_e32 v5, 0
	s_waitcnt lgkmcnt(0)
	s_barrier
	s_and_saveexec_b64 s[6:7], s[0:1]
	s_cbranch_execz .LBB13_7
; %bb.4:                                ;   in Loop: Header=BB13_3 Depth=1
	v_add_u32_e32 v2, -8, v15
	ds_read2_b64 v[34:37], v2 offset1:1
	v_mov_b32_e32 v6, 0
	v_mov_b32_e32 v8, 0
	;; [unrolled: 1-line block ×4, first 2 shown]
	s_waitcnt lgkmcnt(0)
	v_cmp_eq_u64_e32 vcc, v[36:37], v[34:35]
	s_and_saveexec_b64 s[26:27], vcc
; %bb.5:                                ;   in Loop: Header=BB13_3 Depth=1
	v_add_u32_e32 v2, -16, v14
	ds_read_b128 v[6:9], v2
; %bb.6:                                ;   in Loop: Header=BB13_3 Depth=1
	s_or_b64 exec, exec, s[26:27]
.LBB13_7:                               ;   in Loop: Header=BB13_3 Depth=1
	s_or_b64 exec, exec, s[6:7]
	s_waitcnt lgkmcnt(0)
	s_barrier
	ds_read_b128 v[34:37], v14
	v_mov_b32_e32 v2, 0
	v_mov_b32_e32 v3, 0
	s_waitcnt lgkmcnt(0)
	v_add_f64 v[6:7], v[6:7], v[34:35]
	v_add_f64 v[8:9], v[8:9], v[36:37]
	ds_write_b128 v14, v[6:9]
	s_waitcnt lgkmcnt(0)
	s_barrier
	s_and_saveexec_b64 s[6:7], s[2:3]
	s_cbranch_execz .LBB13_11
; %bb.8:                                ;   in Loop: Header=BB13_3 Depth=1
	ds_read_b64 v[4:5], v15
	ds_read_b64 v[6:7], v16
	v_mov_b32_e32 v2, 0
	v_mov_b32_e32 v3, 0
	s_waitcnt lgkmcnt(0)
	v_cmp_eq_u64_e32 vcc, v[4:5], v[6:7]
	v_mov_b32_e32 v4, 0
	v_mov_b32_e32 v5, 0
	s_and_saveexec_b64 s[26:27], vcc
; %bb.9:                                ;   in Loop: Header=BB13_3 Depth=1
	ds_read_b128 v[2:5], v17
; %bb.10:                               ;   in Loop: Header=BB13_3 Depth=1
	s_or_b64 exec, exec, s[26:27]
.LBB13_11:                              ;   in Loop: Header=BB13_3 Depth=1
	s_or_b64 exec, exec, s[6:7]
	s_waitcnt lgkmcnt(0)
	s_barrier
	ds_read_b128 v[6:9], v14
	s_waitcnt lgkmcnt(0)
	v_add_f64 v[34:35], v[2:3], v[6:7]
	v_add_f64 v[36:37], v[4:5], v[8:9]
	v_mov_b32_e32 v4, 0
	v_mov_b32_e32 v8, 0
	v_mov_b32_e32 v6, 0
	v_mov_b32_e32 v5, 0
	v_mov_b32_e32 v9, 0
	v_mov_b32_e32 v7, 0
	ds_write_b128 v14, v[34:37]
	s_waitcnt lgkmcnt(0)
	s_barrier
	s_and_saveexec_b64 s[6:7], s[4:5]
	s_cbranch_execz .LBB13_15
; %bb.12:                               ;   in Loop: Header=BB13_3 Depth=1
	ds_read_b64 v[2:3], v15
	ds_read_b64 v[8:9], v18
	v_mov_b32_e32 v6, 0
	v_mov_b32_e32 v7, 0
	s_waitcnt lgkmcnt(0)
	v_cmp_eq_u64_e32 vcc, v[2:3], v[8:9]
	v_mov_b32_e32 v8, 0
	v_mov_b32_e32 v9, 0
	s_and_saveexec_b64 s[26:27], vcc
; %bb.13:                               ;   in Loop: Header=BB13_3 Depth=1
	ds_read_b128 v[6:9], v19
; %bb.14:                               ;   in Loop: Header=BB13_3 Depth=1
	s_or_b64 exec, exec, s[26:27]
.LBB13_15:                              ;   in Loop: Header=BB13_3 Depth=1
	s_or_b64 exec, exec, s[6:7]
	s_waitcnt lgkmcnt(0)
	s_barrier
	ds_read_b128 v[34:37], v14
	v_mov_b32_e32 v2, 0
	v_mov_b32_e32 v3, 0
	s_waitcnt lgkmcnt(0)
	v_add_f64 v[6:7], v[6:7], v[34:35]
	v_add_f64 v[8:9], v[8:9], v[36:37]
	ds_write_b128 v14, v[6:9]
	s_waitcnt lgkmcnt(0)
	s_barrier
	s_and_saveexec_b64 s[6:7], s[22:23]
	s_cbranch_execz .LBB13_19
; %bb.16:                               ;   in Loop: Header=BB13_3 Depth=1
	ds_read_b64 v[4:5], v15
	ds_read_b64 v[6:7], v20
	v_mov_b32_e32 v2, 0
	v_mov_b32_e32 v3, 0
	s_waitcnt lgkmcnt(0)
	v_cmp_eq_u64_e32 vcc, v[4:5], v[6:7]
	v_mov_b32_e32 v4, 0
	v_mov_b32_e32 v5, 0
	s_and_saveexec_b64 s[26:27], vcc
; %bb.17:                               ;   in Loop: Header=BB13_3 Depth=1
	ds_read_b128 v[2:5], v21
; %bb.18:                               ;   in Loop: Header=BB13_3 Depth=1
	s_or_b64 exec, exec, s[26:27]
.LBB13_19:                              ;   in Loop: Header=BB13_3 Depth=1
	s_or_b64 exec, exec, s[6:7]
	s_waitcnt lgkmcnt(0)
	s_barrier
	ds_read_b128 v[6:9], v14
	s_waitcnt lgkmcnt(0)
	v_add_f64 v[34:35], v[2:3], v[6:7]
	v_add_f64 v[36:37], v[4:5], v[8:9]
	v_mov_b32_e32 v4, 0
	v_mov_b32_e32 v8, 0
	v_mov_b32_e32 v6, 0
	v_mov_b32_e32 v5, 0
	v_mov_b32_e32 v9, 0
	v_mov_b32_e32 v7, 0
	ds_write_b128 v14, v[34:37]
	s_waitcnt lgkmcnt(0)
	s_barrier
	s_and_saveexec_b64 s[6:7], s[8:9]
	s_cbranch_execz .LBB13_23
; %bb.20:                               ;   in Loop: Header=BB13_3 Depth=1
	ds_read_b64 v[2:3], v15
	ds_read_b64 v[8:9], v22
	v_mov_b32_e32 v6, 0
	v_mov_b32_e32 v7, 0
	s_waitcnt lgkmcnt(0)
	v_cmp_eq_u64_e32 vcc, v[2:3], v[8:9]
	v_mov_b32_e32 v8, 0
	v_mov_b32_e32 v9, 0
	s_and_saveexec_b64 s[26:27], vcc
; %bb.21:                               ;   in Loop: Header=BB13_3 Depth=1
	ds_read_b128 v[6:9], v23
; %bb.22:                               ;   in Loop: Header=BB13_3 Depth=1
	s_or_b64 exec, exec, s[26:27]
.LBB13_23:                              ;   in Loop: Header=BB13_3 Depth=1
	s_or_b64 exec, exec, s[6:7]
	s_waitcnt lgkmcnt(0)
	s_barrier
	ds_read_b128 v[34:37], v14
	v_mov_b32_e32 v2, 0
	v_mov_b32_e32 v3, 0
	s_waitcnt lgkmcnt(0)
	v_add_f64 v[6:7], v[6:7], v[34:35]
	v_add_f64 v[8:9], v[8:9], v[36:37]
	ds_write_b128 v14, v[6:9]
	s_waitcnt lgkmcnt(0)
	s_barrier
	s_and_saveexec_b64 s[6:7], s[10:11]
	s_cbranch_execz .LBB13_27
; %bb.24:                               ;   in Loop: Header=BB13_3 Depth=1
	ds_read_b64 v[4:5], v15
	ds_read_b64 v[6:7], v24
	v_mov_b32_e32 v2, 0
	v_mov_b32_e32 v3, 0
	s_waitcnt lgkmcnt(0)
	v_cmp_eq_u64_e32 vcc, v[4:5], v[6:7]
	v_mov_b32_e32 v4, 0
	v_mov_b32_e32 v5, 0
	s_and_saveexec_b64 s[26:27], vcc
; %bb.25:                               ;   in Loop: Header=BB13_3 Depth=1
	ds_read_b128 v[2:5], v25
; %bb.26:                               ;   in Loop: Header=BB13_3 Depth=1
	s_or_b64 exec, exec, s[26:27]
.LBB13_27:                              ;   in Loop: Header=BB13_3 Depth=1
	;; [unrolled: 62-line block ×4, first 2 shown]
	s_or_b64 exec, exec, s[6:7]
	s_waitcnt lgkmcnt(0)
	s_barrier
	ds_read_b128 v[6:9], v14
	s_waitcnt lgkmcnt(0)
	v_add_f64 v[2:3], v[2:3], v[6:7]
	v_add_f64 v[4:5], v[4:5], v[8:9]
	ds_write_b128 v14, v[2:5]
	s_waitcnt lgkmcnt(0)
	s_barrier
	ds_read_b64 v[2:3], v15
	v_mov_b32_e32 v4, -1
	v_mov_b32_e32 v5, -1
	s_and_saveexec_b64 s[6:7], s[20:21]
; %bb.44:                               ;   in Loop: Header=BB13_3 Depth=1
	ds_read_b64 v[4:5], v15 offset:8
; %bb.45:                               ;   in Loop: Header=BB13_3 Depth=1
	s_or_b64 exec, exec, s[6:7]
	s_waitcnt lgkmcnt(0)
	v_cmp_ne_u64_e32 vcc, v[2:3], v[4:5]
	v_cmp_lt_i64_e64 s[6:7], -1, v[2:3]
	s_and_b64 s[26:27], s[6:7], vcc
	s_and_saveexec_b64 s[6:7], s[26:27]
	s_cbranch_execz .LBB13_2
; %bb.46:                               ;   in Loop: Header=BB13_3 Depth=1
	s_mov_b64 s[26:27], -1
	s_and_b64 vcc, exec, s[36:37]
	s_cbranch_vccz .LBB13_48
; %bb.47:                               ;   in Loop: Header=BB13_3 Depth=1
	v_mul_lo_u32 v6, v3, s30
	v_mul_lo_u32 v7, v2, s31
	v_mad_u64_u32 v[4:5], s[26:27], v2, s30, 0
	ds_read_b128 v[34:37], v14
	s_mov_b64 s[26:27], 0
	v_add3_u32 v5, v5, v7, v6
	v_lshlrev_b64 v[4:5], 4, v[4:5]
	v_mov_b32_e32 v6, s38
	v_add_co_u32_e32 v8, vcc, s33, v4
	v_addc_co_u32_e32 v9, vcc, v6, v5, vcc
	global_load_dwordx4 v[4:7], v[8:9], off
	s_waitcnt vmcnt(0) lgkmcnt(0)
	v_add_f64 v[4:5], v[34:35], v[4:5]
	v_add_f64 v[6:7], v[36:37], v[6:7]
	global_store_dwordx4 v[8:9], v[4:7], off
.LBB13_48:                              ;   in Loop: Header=BB13_3 Depth=1
	s_andn2_b64 vcc, exec, s[26:27]
	s_cbranch_vccnz .LBB13_2
; %bb.49:                               ;   in Loop: Header=BB13_3 Depth=1
	v_lshlrev_b64 v[2:3], 4, v[2:3]
	v_mov_b32_e32 v4, s29
	v_add_co_u32_e32 v34, vcc, s28, v2
	v_addc_co_u32_e32 v35, vcc, v4, v3, vcc
	global_load_dwordx4 v[2:5], v[34:35], off
	ds_read_b128 v[6:9], v14
	s_waitcnt vmcnt(0) lgkmcnt(0)
	v_add_f64 v[2:3], v[6:7], v[2:3]
	v_add_f64 v[4:5], v[8:9], v[4:5]
	global_store_dwordx4 v[34:35], v[2:5], off
	s_branch .LBB13_2
.LBB13_50:
	s_endpgm
	.section	.rodata,"a",@progbits
	.p2align	6, 0x0
	.amdhsa_kernel _ZN9rocsparseL28csrmmnn_general_block_reduceILj1024Eli21rocsparse_complex_numIdES2_EEvT0_PKT1_PKT3_PT2_l16rocsparse_order_
		.amdhsa_group_segment_fixed_size 24576
		.amdhsa_private_segment_fixed_size 0
		.amdhsa_kernarg_size 44
		.amdhsa_user_sgpr_count 6
		.amdhsa_user_sgpr_private_segment_buffer 1
		.amdhsa_user_sgpr_dispatch_ptr 0
		.amdhsa_user_sgpr_queue_ptr 0
		.amdhsa_user_sgpr_kernarg_segment_ptr 1
		.amdhsa_user_sgpr_dispatch_id 0
		.amdhsa_user_sgpr_flat_scratch_init 0
		.amdhsa_user_sgpr_private_segment_size 0
		.amdhsa_uses_dynamic_stack 0
		.amdhsa_system_sgpr_private_segment_wavefront_offset 0
		.amdhsa_system_sgpr_workgroup_id_x 1
		.amdhsa_system_sgpr_workgroup_id_y 0
		.amdhsa_system_sgpr_workgroup_id_z 0
		.amdhsa_system_sgpr_workgroup_info 0
		.amdhsa_system_vgpr_workitem_id 0
		.amdhsa_next_free_vgpr 38
		.amdhsa_next_free_sgpr 61
		.amdhsa_reserve_vcc 1
		.amdhsa_reserve_flat_scratch 0
		.amdhsa_float_round_mode_32 0
		.amdhsa_float_round_mode_16_64 0
		.amdhsa_float_denorm_mode_32 3
		.amdhsa_float_denorm_mode_16_64 3
		.amdhsa_dx10_clamp 1
		.amdhsa_ieee_mode 1
		.amdhsa_fp16_overflow 0
		.amdhsa_exception_fp_ieee_invalid_op 0
		.amdhsa_exception_fp_denorm_src 0
		.amdhsa_exception_fp_ieee_div_zero 0
		.amdhsa_exception_fp_ieee_overflow 0
		.amdhsa_exception_fp_ieee_underflow 0
		.amdhsa_exception_fp_ieee_inexact 0
		.amdhsa_exception_int_div_zero 0
	.end_amdhsa_kernel
	.section	.text._ZN9rocsparseL28csrmmnn_general_block_reduceILj1024Eli21rocsparse_complex_numIdES2_EEvT0_PKT1_PKT3_PT2_l16rocsparse_order_,"axG",@progbits,_ZN9rocsparseL28csrmmnn_general_block_reduceILj1024Eli21rocsparse_complex_numIdES2_EEvT0_PKT1_PKT3_PT2_l16rocsparse_order_,comdat
.Lfunc_end13:
	.size	_ZN9rocsparseL28csrmmnn_general_block_reduceILj1024Eli21rocsparse_complex_numIdES2_EEvT0_PKT1_PKT3_PT2_l16rocsparse_order_, .Lfunc_end13-_ZN9rocsparseL28csrmmnn_general_block_reduceILj1024Eli21rocsparse_complex_numIdES2_EEvT0_PKT1_PKT3_PT2_l16rocsparse_order_
                                        ; -- End function
	.set _ZN9rocsparseL28csrmmnn_general_block_reduceILj1024Eli21rocsparse_complex_numIdES2_EEvT0_PKT1_PKT3_PT2_l16rocsparse_order_.num_vgpr, 38
	.set _ZN9rocsparseL28csrmmnn_general_block_reduceILj1024Eli21rocsparse_complex_numIdES2_EEvT0_PKT1_PKT3_PT2_l16rocsparse_order_.num_agpr, 0
	.set _ZN9rocsparseL28csrmmnn_general_block_reduceILj1024Eli21rocsparse_complex_numIdES2_EEvT0_PKT1_PKT3_PT2_l16rocsparse_order_.numbered_sgpr, 39
	.set _ZN9rocsparseL28csrmmnn_general_block_reduceILj1024Eli21rocsparse_complex_numIdES2_EEvT0_PKT1_PKT3_PT2_l16rocsparse_order_.num_named_barrier, 0
	.set _ZN9rocsparseL28csrmmnn_general_block_reduceILj1024Eli21rocsparse_complex_numIdES2_EEvT0_PKT1_PKT3_PT2_l16rocsparse_order_.private_seg_size, 0
	.set _ZN9rocsparseL28csrmmnn_general_block_reduceILj1024Eli21rocsparse_complex_numIdES2_EEvT0_PKT1_PKT3_PT2_l16rocsparse_order_.uses_vcc, 1
	.set _ZN9rocsparseL28csrmmnn_general_block_reduceILj1024Eli21rocsparse_complex_numIdES2_EEvT0_PKT1_PKT3_PT2_l16rocsparse_order_.uses_flat_scratch, 0
	.set _ZN9rocsparseL28csrmmnn_general_block_reduceILj1024Eli21rocsparse_complex_numIdES2_EEvT0_PKT1_PKT3_PT2_l16rocsparse_order_.has_dyn_sized_stack, 0
	.set _ZN9rocsparseL28csrmmnn_general_block_reduceILj1024Eli21rocsparse_complex_numIdES2_EEvT0_PKT1_PKT3_PT2_l16rocsparse_order_.has_recursion, 0
	.set _ZN9rocsparseL28csrmmnn_general_block_reduceILj1024Eli21rocsparse_complex_numIdES2_EEvT0_PKT1_PKT3_PT2_l16rocsparse_order_.has_indirect_call, 0
	.section	.AMDGPU.csdata,"",@progbits
; Kernel info:
; codeLenInByte = 2192
; TotalNumSgprs: 43
; NumVgprs: 38
; ScratchSize: 0
; MemoryBound: 0
; FloatMode: 240
; IeeeMode: 1
; LDSByteSize: 24576 bytes/workgroup (compile time only)
; SGPRBlocks: 8
; VGPRBlocks: 9
; NumSGPRsForWavesPerEU: 65
; NumVGPRsForWavesPerEU: 38
; Occupancy: 6
; WaveLimiterHint : 0
; COMPUTE_PGM_RSRC2:SCRATCH_EN: 0
; COMPUTE_PGM_RSRC2:USER_SGPR: 6
; COMPUTE_PGM_RSRC2:TRAP_HANDLER: 0
; COMPUTE_PGM_RSRC2:TGID_X_EN: 1
; COMPUTE_PGM_RSRC2:TGID_Y_EN: 0
; COMPUTE_PGM_RSRC2:TGID_Z_EN: 0
; COMPUTE_PGM_RSRC2:TIDIG_COMP_CNT: 0
	.section	.text._ZN9rocsparseL28csrmmnn_general_block_reduceILj1024Ell21rocsparse_complex_numIdES2_EEvT0_PKT1_PKT3_PT2_l16rocsparse_order_,"axG",@progbits,_ZN9rocsparseL28csrmmnn_general_block_reduceILj1024Ell21rocsparse_complex_numIdES2_EEvT0_PKT1_PKT3_PT2_l16rocsparse_order_,comdat
	.globl	_ZN9rocsparseL28csrmmnn_general_block_reduceILj1024Ell21rocsparse_complex_numIdES2_EEvT0_PKT1_PKT3_PT2_l16rocsparse_order_ ; -- Begin function _ZN9rocsparseL28csrmmnn_general_block_reduceILj1024Ell21rocsparse_complex_numIdES2_EEvT0_PKT1_PKT3_PT2_l16rocsparse_order_
	.p2align	8
	.type	_ZN9rocsparseL28csrmmnn_general_block_reduceILj1024Ell21rocsparse_complex_numIdES2_EEvT0_PKT1_PKT3_PT2_l16rocsparse_order_,@function
_ZN9rocsparseL28csrmmnn_general_block_reduceILj1024Ell21rocsparse_complex_numIdES2_EEvT0_PKT1_PKT3_PT2_l16rocsparse_order_: ; @_ZN9rocsparseL28csrmmnn_general_block_reduceILj1024Ell21rocsparse_complex_numIdES2_EEvT0_PKT1_PKT3_PT2_l16rocsparse_order_
; %bb.0:
	s_load_dwordx2 s[34:35], s[4:5], 0x0
	v_mov_b32_e32 v1, 0
	v_mov_b32_e32 v3, -1
	v_lshlrev_b32_e32 v2, 3, v0
	v_mov_b32_e32 v4, v3
	s_waitcnt lgkmcnt(0)
	v_cmp_gt_i64_e32 vcc, s[34:35], v[0:1]
	ds_write_b64 v2, v[3:4] offset:16384
	v_lshlrev_b32_e32 v14, 4, v0
	s_mov_b32 s7, 0
	v_mov_b32_e32 v3, v1
	v_mov_b32_e32 v4, v1
	;; [unrolled: 1-line block ×4, first 2 shown]
	ds_write_b128 v14, v[3:6]
	s_waitcnt lgkmcnt(0)
	s_barrier
	s_and_saveexec_b64 s[0:1], vcc
	s_cbranch_execz .LBB14_50
; %bb.1:
	s_load_dwordx8 s[24:31], s[4:5], 0x8
	s_load_dword s20, s[4:5], 0x28
	s_lshl_b64 s[2:3], s[6:7], 4
	s_movk_i32 s7, 0x7f
	v_cmp_lt_u32_e64 s[14:15], s7, v0
	s_waitcnt lgkmcnt(0)
	s_add_u32 s33, s28, s2
	s_movk_i32 s7, 0xff
	s_addc_u32 s38, s29, s3
	v_cmp_lt_u32_e64 s[16:17], s7, v0
	s_movk_i32 s7, 0x1ff
	v_cmp_lt_u32_e64 s[18:19], s7, v0
	s_cmp_lg_u32 s20, 1
	s_mul_i32 s7, s31, s6
	s_mul_hi_u32 s20, s30, s6
	s_cselect_b64 s[36:37], -1, 0
	s_add_i32 s21, s20, s7
	s_mul_i32 s20, s30, s6
	s_lshl_b64 s[20:21], s[20:21], 4
	s_add_u32 s28, s28, s20
	s_mul_i32 s7, s35, s6
	s_mul_hi_u32 s20, s34, s6
	s_addc_u32 s29, s29, s21
	s_add_i32 s7, s20, s7
	s_mul_i32 s6, s34, s6
	s_lshl_b64 s[6:7], s[6:7], 4
	s_add_u32 s6, s26, s6
	v_or_b32_e32 v15, 0x4000, v2
	v_lshlrev_b32_e32 v2, 4, v0
	s_addc_u32 s7, s27, s7
	v_mov_b32_e32 v3, s7
	v_add_co_u32_e32 v10, vcc, s6, v2
	v_addc_co_u32_e32 v11, vcc, 0, v3, vcc
	v_lshlrev_b32_e32 v2, 3, v0
	v_mov_b32_e32 v3, s25
	v_add_co_u32_e32 v12, vcc, s24, v2
	s_movk_i32 s6, 0x3ff
	v_cmp_ne_u32_e64 s[0:1], 0, v0
	v_cmp_lt_u32_e64 s[2:3], 1, v0
	v_add_u32_e32 v16, -16, v15
	v_subrev_u32_e32 v17, 32, v14
	v_cmp_lt_u32_e64 s[4:5], 3, v0
	v_subrev_u32_e32 v18, 32, v15
	v_subrev_u32_e32 v19, 64, v14
	v_cmp_lt_u32_e64 s[22:23], 7, v0
	v_subrev_u32_e32 v20, 64, v15
	v_add_u32_e32 v21, 0xffffff80, v14
	v_cmp_lt_u32_e64 s[8:9], 15, v0
	v_add_u32_e32 v22, 0xffffff80, v15
	v_add_u32_e32 v23, 0xffffff00, v14
	v_cmp_lt_u32_e64 s[10:11], 31, v0
	v_add_u32_e32 v24, 0xffffff00, v15
	v_add_u32_e32 v25, 0xfffffe00, v14
	v_cmp_lt_u32_e64 s[12:13], 63, v0
	v_add_u32_e32 v26, 0xfffffe00, v15
	v_add_u32_e32 v27, 0xfffffc00, v14
	v_add_u32_e32 v28, 0xfffffc00, v15
	;; [unrolled: 1-line block ×6, first 2 shown]
	v_addc_co_u32_e32 v13, vcc, 0, v3, vcc
	v_add_u32_e32 v33, 0xffffe000, v14
	v_cmp_ne_u32_e64 s[20:21], s6, v0
	s_mov_b64 s[24:25], 0
	s_branch .LBB14_3
.LBB14_2:                               ;   in Loop: Header=BB14_3 Depth=1
	s_or_b64 exec, exec, s[6:7]
	v_add_co_u32_e32 v0, vcc, 0x400, v0
	v_addc_co_u32_e32 v1, vcc, 0, v1, vcc
	v_add_co_u32_e32 v10, vcc, 0x4000, v10
	v_addc_co_u32_e32 v11, vcc, 0, v11, vcc
	v_cmp_le_i64_e64 s[6:7], s[34:35], v[0:1]
	v_add_co_u32_e32 v12, vcc, 0x2000, v12
	s_or_b64 s[24:25], s[6:7], s[24:25]
	v_addc_co_u32_e32 v13, vcc, 0, v13, vcc
	s_waitcnt vmcnt(0)
	s_barrier
	s_andn2_b64 exec, exec, s[24:25]
	s_cbranch_execz .LBB14_50
.LBB14_3:                               ; =>This Inner Loop Header: Depth=1
	global_load_dwordx2 v[2:3], v[12:13], off
	v_mov_b32_e32 v8, 0
	v_mov_b32_e32 v6, 0
	;; [unrolled: 1-line block ×4, first 2 shown]
	s_waitcnt vmcnt(0)
	ds_write_b64 v15, v[2:3]
	global_load_dwordx4 v[2:5], v[10:11], off
	s_waitcnt vmcnt(0)
	ds_write2_b64 v14, v[2:3], v[4:5] offset1:1
	v_mov_b32_e32 v4, 0
	v_mov_b32_e32 v5, 0
	s_waitcnt lgkmcnt(0)
	s_barrier
	s_and_saveexec_b64 s[6:7], s[0:1]
	s_cbranch_execz .LBB14_7
; %bb.4:                                ;   in Loop: Header=BB14_3 Depth=1
	v_add_u32_e32 v2, -8, v15
	ds_read2_b64 v[34:37], v2 offset1:1
	v_mov_b32_e32 v6, 0
	v_mov_b32_e32 v8, 0
	;; [unrolled: 1-line block ×4, first 2 shown]
	s_waitcnt lgkmcnt(0)
	v_cmp_eq_u64_e32 vcc, v[36:37], v[34:35]
	s_and_saveexec_b64 s[26:27], vcc
; %bb.5:                                ;   in Loop: Header=BB14_3 Depth=1
	v_add_u32_e32 v2, -16, v14
	ds_read_b128 v[6:9], v2
; %bb.6:                                ;   in Loop: Header=BB14_3 Depth=1
	s_or_b64 exec, exec, s[26:27]
.LBB14_7:                               ;   in Loop: Header=BB14_3 Depth=1
	s_or_b64 exec, exec, s[6:7]
	s_waitcnt lgkmcnt(0)
	s_barrier
	ds_read_b128 v[34:37], v14
	v_mov_b32_e32 v2, 0
	v_mov_b32_e32 v3, 0
	s_waitcnt lgkmcnt(0)
	v_add_f64 v[6:7], v[6:7], v[34:35]
	v_add_f64 v[8:9], v[8:9], v[36:37]
	ds_write_b128 v14, v[6:9]
	s_waitcnt lgkmcnt(0)
	s_barrier
	s_and_saveexec_b64 s[6:7], s[2:3]
	s_cbranch_execz .LBB14_11
; %bb.8:                                ;   in Loop: Header=BB14_3 Depth=1
	ds_read_b64 v[4:5], v15
	ds_read_b64 v[6:7], v16
	v_mov_b32_e32 v2, 0
	v_mov_b32_e32 v3, 0
	s_waitcnt lgkmcnt(0)
	v_cmp_eq_u64_e32 vcc, v[4:5], v[6:7]
	v_mov_b32_e32 v4, 0
	v_mov_b32_e32 v5, 0
	s_and_saveexec_b64 s[26:27], vcc
; %bb.9:                                ;   in Loop: Header=BB14_3 Depth=1
	ds_read_b128 v[2:5], v17
; %bb.10:                               ;   in Loop: Header=BB14_3 Depth=1
	s_or_b64 exec, exec, s[26:27]
.LBB14_11:                              ;   in Loop: Header=BB14_3 Depth=1
	s_or_b64 exec, exec, s[6:7]
	s_waitcnt lgkmcnt(0)
	s_barrier
	ds_read_b128 v[6:9], v14
	s_waitcnt lgkmcnt(0)
	v_add_f64 v[34:35], v[2:3], v[6:7]
	v_add_f64 v[36:37], v[4:5], v[8:9]
	v_mov_b32_e32 v4, 0
	v_mov_b32_e32 v8, 0
	v_mov_b32_e32 v6, 0
	v_mov_b32_e32 v5, 0
	v_mov_b32_e32 v9, 0
	v_mov_b32_e32 v7, 0
	ds_write_b128 v14, v[34:37]
	s_waitcnt lgkmcnt(0)
	s_barrier
	s_and_saveexec_b64 s[6:7], s[4:5]
	s_cbranch_execz .LBB14_15
; %bb.12:                               ;   in Loop: Header=BB14_3 Depth=1
	ds_read_b64 v[2:3], v15
	ds_read_b64 v[8:9], v18
	v_mov_b32_e32 v6, 0
	v_mov_b32_e32 v7, 0
	s_waitcnt lgkmcnt(0)
	v_cmp_eq_u64_e32 vcc, v[2:3], v[8:9]
	v_mov_b32_e32 v8, 0
	v_mov_b32_e32 v9, 0
	s_and_saveexec_b64 s[26:27], vcc
; %bb.13:                               ;   in Loop: Header=BB14_3 Depth=1
	ds_read_b128 v[6:9], v19
; %bb.14:                               ;   in Loop: Header=BB14_3 Depth=1
	s_or_b64 exec, exec, s[26:27]
.LBB14_15:                              ;   in Loop: Header=BB14_3 Depth=1
	s_or_b64 exec, exec, s[6:7]
	s_waitcnt lgkmcnt(0)
	s_barrier
	ds_read_b128 v[34:37], v14
	v_mov_b32_e32 v2, 0
	v_mov_b32_e32 v3, 0
	s_waitcnt lgkmcnt(0)
	v_add_f64 v[6:7], v[6:7], v[34:35]
	v_add_f64 v[8:9], v[8:9], v[36:37]
	ds_write_b128 v14, v[6:9]
	s_waitcnt lgkmcnt(0)
	s_barrier
	s_and_saveexec_b64 s[6:7], s[22:23]
	s_cbranch_execz .LBB14_19
; %bb.16:                               ;   in Loop: Header=BB14_3 Depth=1
	ds_read_b64 v[4:5], v15
	ds_read_b64 v[6:7], v20
	v_mov_b32_e32 v2, 0
	v_mov_b32_e32 v3, 0
	s_waitcnt lgkmcnt(0)
	v_cmp_eq_u64_e32 vcc, v[4:5], v[6:7]
	v_mov_b32_e32 v4, 0
	v_mov_b32_e32 v5, 0
	s_and_saveexec_b64 s[26:27], vcc
; %bb.17:                               ;   in Loop: Header=BB14_3 Depth=1
	ds_read_b128 v[2:5], v21
; %bb.18:                               ;   in Loop: Header=BB14_3 Depth=1
	s_or_b64 exec, exec, s[26:27]
.LBB14_19:                              ;   in Loop: Header=BB14_3 Depth=1
	s_or_b64 exec, exec, s[6:7]
	s_waitcnt lgkmcnt(0)
	s_barrier
	ds_read_b128 v[6:9], v14
	s_waitcnt lgkmcnt(0)
	v_add_f64 v[34:35], v[2:3], v[6:7]
	v_add_f64 v[36:37], v[4:5], v[8:9]
	v_mov_b32_e32 v4, 0
	v_mov_b32_e32 v8, 0
	v_mov_b32_e32 v6, 0
	v_mov_b32_e32 v5, 0
	v_mov_b32_e32 v9, 0
	v_mov_b32_e32 v7, 0
	ds_write_b128 v14, v[34:37]
	s_waitcnt lgkmcnt(0)
	s_barrier
	s_and_saveexec_b64 s[6:7], s[8:9]
	s_cbranch_execz .LBB14_23
; %bb.20:                               ;   in Loop: Header=BB14_3 Depth=1
	ds_read_b64 v[2:3], v15
	ds_read_b64 v[8:9], v22
	v_mov_b32_e32 v6, 0
	v_mov_b32_e32 v7, 0
	s_waitcnt lgkmcnt(0)
	v_cmp_eq_u64_e32 vcc, v[2:3], v[8:9]
	v_mov_b32_e32 v8, 0
	v_mov_b32_e32 v9, 0
	s_and_saveexec_b64 s[26:27], vcc
; %bb.21:                               ;   in Loop: Header=BB14_3 Depth=1
	ds_read_b128 v[6:9], v23
; %bb.22:                               ;   in Loop: Header=BB14_3 Depth=1
	s_or_b64 exec, exec, s[26:27]
.LBB14_23:                              ;   in Loop: Header=BB14_3 Depth=1
	s_or_b64 exec, exec, s[6:7]
	s_waitcnt lgkmcnt(0)
	s_barrier
	ds_read_b128 v[34:37], v14
	v_mov_b32_e32 v2, 0
	v_mov_b32_e32 v3, 0
	s_waitcnt lgkmcnt(0)
	v_add_f64 v[6:7], v[6:7], v[34:35]
	v_add_f64 v[8:9], v[8:9], v[36:37]
	ds_write_b128 v14, v[6:9]
	s_waitcnt lgkmcnt(0)
	s_barrier
	s_and_saveexec_b64 s[6:7], s[10:11]
	s_cbranch_execz .LBB14_27
; %bb.24:                               ;   in Loop: Header=BB14_3 Depth=1
	ds_read_b64 v[4:5], v15
	ds_read_b64 v[6:7], v24
	v_mov_b32_e32 v2, 0
	v_mov_b32_e32 v3, 0
	s_waitcnt lgkmcnt(0)
	v_cmp_eq_u64_e32 vcc, v[4:5], v[6:7]
	v_mov_b32_e32 v4, 0
	v_mov_b32_e32 v5, 0
	s_and_saveexec_b64 s[26:27], vcc
; %bb.25:                               ;   in Loop: Header=BB14_3 Depth=1
	ds_read_b128 v[2:5], v25
; %bb.26:                               ;   in Loop: Header=BB14_3 Depth=1
	s_or_b64 exec, exec, s[26:27]
.LBB14_27:                              ;   in Loop: Header=BB14_3 Depth=1
	;; [unrolled: 62-line block ×4, first 2 shown]
	s_or_b64 exec, exec, s[6:7]
	s_waitcnt lgkmcnt(0)
	s_barrier
	ds_read_b128 v[6:9], v14
	s_waitcnt lgkmcnt(0)
	v_add_f64 v[2:3], v[2:3], v[6:7]
	v_add_f64 v[4:5], v[4:5], v[8:9]
	ds_write_b128 v14, v[2:5]
	s_waitcnt lgkmcnt(0)
	s_barrier
	ds_read_b64 v[2:3], v15
	v_mov_b32_e32 v4, -1
	v_mov_b32_e32 v5, -1
	s_and_saveexec_b64 s[6:7], s[20:21]
; %bb.44:                               ;   in Loop: Header=BB14_3 Depth=1
	ds_read_b64 v[4:5], v15 offset:8
; %bb.45:                               ;   in Loop: Header=BB14_3 Depth=1
	s_or_b64 exec, exec, s[6:7]
	s_waitcnt lgkmcnt(0)
	v_cmp_ne_u64_e32 vcc, v[2:3], v[4:5]
	v_cmp_lt_i64_e64 s[6:7], -1, v[2:3]
	s_and_b64 s[26:27], s[6:7], vcc
	s_and_saveexec_b64 s[6:7], s[26:27]
	s_cbranch_execz .LBB14_2
; %bb.46:                               ;   in Loop: Header=BB14_3 Depth=1
	s_mov_b64 s[26:27], -1
	s_and_b64 vcc, exec, s[36:37]
	s_cbranch_vccz .LBB14_48
; %bb.47:                               ;   in Loop: Header=BB14_3 Depth=1
	v_mul_lo_u32 v6, v3, s30
	v_mul_lo_u32 v7, v2, s31
	v_mad_u64_u32 v[4:5], s[26:27], v2, s30, 0
	ds_read_b128 v[34:37], v14
	s_mov_b64 s[26:27], 0
	v_add3_u32 v5, v5, v7, v6
	v_lshlrev_b64 v[4:5], 4, v[4:5]
	v_mov_b32_e32 v6, s38
	v_add_co_u32_e32 v8, vcc, s33, v4
	v_addc_co_u32_e32 v9, vcc, v6, v5, vcc
	global_load_dwordx4 v[4:7], v[8:9], off
	s_waitcnt vmcnt(0) lgkmcnt(0)
	v_add_f64 v[4:5], v[34:35], v[4:5]
	v_add_f64 v[6:7], v[36:37], v[6:7]
	global_store_dwordx4 v[8:9], v[4:7], off
.LBB14_48:                              ;   in Loop: Header=BB14_3 Depth=1
	s_andn2_b64 vcc, exec, s[26:27]
	s_cbranch_vccnz .LBB14_2
; %bb.49:                               ;   in Loop: Header=BB14_3 Depth=1
	v_lshlrev_b64 v[2:3], 4, v[2:3]
	v_mov_b32_e32 v4, s29
	v_add_co_u32_e32 v34, vcc, s28, v2
	v_addc_co_u32_e32 v35, vcc, v4, v3, vcc
	global_load_dwordx4 v[2:5], v[34:35], off
	ds_read_b128 v[6:9], v14
	s_waitcnt vmcnt(0) lgkmcnt(0)
	v_add_f64 v[2:3], v[6:7], v[2:3]
	v_add_f64 v[4:5], v[8:9], v[4:5]
	global_store_dwordx4 v[34:35], v[2:5], off
	s_branch .LBB14_2
.LBB14_50:
	s_endpgm
	.section	.rodata,"a",@progbits
	.p2align	6, 0x0
	.amdhsa_kernel _ZN9rocsparseL28csrmmnn_general_block_reduceILj1024Ell21rocsparse_complex_numIdES2_EEvT0_PKT1_PKT3_PT2_l16rocsparse_order_
		.amdhsa_group_segment_fixed_size 24576
		.amdhsa_private_segment_fixed_size 0
		.amdhsa_kernarg_size 44
		.amdhsa_user_sgpr_count 6
		.amdhsa_user_sgpr_private_segment_buffer 1
		.amdhsa_user_sgpr_dispatch_ptr 0
		.amdhsa_user_sgpr_queue_ptr 0
		.amdhsa_user_sgpr_kernarg_segment_ptr 1
		.amdhsa_user_sgpr_dispatch_id 0
		.amdhsa_user_sgpr_flat_scratch_init 0
		.amdhsa_user_sgpr_private_segment_size 0
		.amdhsa_uses_dynamic_stack 0
		.amdhsa_system_sgpr_private_segment_wavefront_offset 0
		.amdhsa_system_sgpr_workgroup_id_x 1
		.amdhsa_system_sgpr_workgroup_id_y 0
		.amdhsa_system_sgpr_workgroup_id_z 0
		.amdhsa_system_sgpr_workgroup_info 0
		.amdhsa_system_vgpr_workitem_id 0
		.amdhsa_next_free_vgpr 38
		.amdhsa_next_free_sgpr 61
		.amdhsa_reserve_vcc 1
		.amdhsa_reserve_flat_scratch 0
		.amdhsa_float_round_mode_32 0
		.amdhsa_float_round_mode_16_64 0
		.amdhsa_float_denorm_mode_32 3
		.amdhsa_float_denorm_mode_16_64 3
		.amdhsa_dx10_clamp 1
		.amdhsa_ieee_mode 1
		.amdhsa_fp16_overflow 0
		.amdhsa_exception_fp_ieee_invalid_op 0
		.amdhsa_exception_fp_denorm_src 0
		.amdhsa_exception_fp_ieee_div_zero 0
		.amdhsa_exception_fp_ieee_overflow 0
		.amdhsa_exception_fp_ieee_underflow 0
		.amdhsa_exception_fp_ieee_inexact 0
		.amdhsa_exception_int_div_zero 0
	.end_amdhsa_kernel
	.section	.text._ZN9rocsparseL28csrmmnn_general_block_reduceILj1024Ell21rocsparse_complex_numIdES2_EEvT0_PKT1_PKT3_PT2_l16rocsparse_order_,"axG",@progbits,_ZN9rocsparseL28csrmmnn_general_block_reduceILj1024Ell21rocsparse_complex_numIdES2_EEvT0_PKT1_PKT3_PT2_l16rocsparse_order_,comdat
.Lfunc_end14:
	.size	_ZN9rocsparseL28csrmmnn_general_block_reduceILj1024Ell21rocsparse_complex_numIdES2_EEvT0_PKT1_PKT3_PT2_l16rocsparse_order_, .Lfunc_end14-_ZN9rocsparseL28csrmmnn_general_block_reduceILj1024Ell21rocsparse_complex_numIdES2_EEvT0_PKT1_PKT3_PT2_l16rocsparse_order_
                                        ; -- End function
	.set _ZN9rocsparseL28csrmmnn_general_block_reduceILj1024Ell21rocsparse_complex_numIdES2_EEvT0_PKT1_PKT3_PT2_l16rocsparse_order_.num_vgpr, 38
	.set _ZN9rocsparseL28csrmmnn_general_block_reduceILj1024Ell21rocsparse_complex_numIdES2_EEvT0_PKT1_PKT3_PT2_l16rocsparse_order_.num_agpr, 0
	.set _ZN9rocsparseL28csrmmnn_general_block_reduceILj1024Ell21rocsparse_complex_numIdES2_EEvT0_PKT1_PKT3_PT2_l16rocsparse_order_.numbered_sgpr, 39
	.set _ZN9rocsparseL28csrmmnn_general_block_reduceILj1024Ell21rocsparse_complex_numIdES2_EEvT0_PKT1_PKT3_PT2_l16rocsparse_order_.num_named_barrier, 0
	.set _ZN9rocsparseL28csrmmnn_general_block_reduceILj1024Ell21rocsparse_complex_numIdES2_EEvT0_PKT1_PKT3_PT2_l16rocsparse_order_.private_seg_size, 0
	.set _ZN9rocsparseL28csrmmnn_general_block_reduceILj1024Ell21rocsparse_complex_numIdES2_EEvT0_PKT1_PKT3_PT2_l16rocsparse_order_.uses_vcc, 1
	.set _ZN9rocsparseL28csrmmnn_general_block_reduceILj1024Ell21rocsparse_complex_numIdES2_EEvT0_PKT1_PKT3_PT2_l16rocsparse_order_.uses_flat_scratch, 0
	.set _ZN9rocsparseL28csrmmnn_general_block_reduceILj1024Ell21rocsparse_complex_numIdES2_EEvT0_PKT1_PKT3_PT2_l16rocsparse_order_.has_dyn_sized_stack, 0
	.set _ZN9rocsparseL28csrmmnn_general_block_reduceILj1024Ell21rocsparse_complex_numIdES2_EEvT0_PKT1_PKT3_PT2_l16rocsparse_order_.has_recursion, 0
	.set _ZN9rocsparseL28csrmmnn_general_block_reduceILj1024Ell21rocsparse_complex_numIdES2_EEvT0_PKT1_PKT3_PT2_l16rocsparse_order_.has_indirect_call, 0
	.section	.AMDGPU.csdata,"",@progbits
; Kernel info:
; codeLenInByte = 2188
; TotalNumSgprs: 43
; NumVgprs: 38
; ScratchSize: 0
; MemoryBound: 0
; FloatMode: 240
; IeeeMode: 1
; LDSByteSize: 24576 bytes/workgroup (compile time only)
; SGPRBlocks: 8
; VGPRBlocks: 9
; NumSGPRsForWavesPerEU: 65
; NumVGPRsForWavesPerEU: 38
; Occupancy: 6
; WaveLimiterHint : 0
; COMPUTE_PGM_RSRC2:SCRATCH_EN: 0
; COMPUTE_PGM_RSRC2:USER_SGPR: 6
; COMPUTE_PGM_RSRC2:TRAP_HANDLER: 0
; COMPUTE_PGM_RSRC2:TGID_X_EN: 1
; COMPUTE_PGM_RSRC2:TGID_Y_EN: 0
; COMPUTE_PGM_RSRC2:TGID_Z_EN: 0
; COMPUTE_PGM_RSRC2:TIDIG_COMP_CNT: 0
	.section	.text._ZN9rocsparseL28csrmmnn_general_block_reduceILj1024EiiiiEEvT0_PKT1_PKT3_PT2_l16rocsparse_order_,"axG",@progbits,_ZN9rocsparseL28csrmmnn_general_block_reduceILj1024EiiiiEEvT0_PKT1_PKT3_PT2_l16rocsparse_order_,comdat
	.globl	_ZN9rocsparseL28csrmmnn_general_block_reduceILj1024EiiiiEEvT0_PKT1_PKT3_PT2_l16rocsparse_order_ ; -- Begin function _ZN9rocsparseL28csrmmnn_general_block_reduceILj1024EiiiiEEvT0_PKT1_PKT3_PT2_l16rocsparse_order_
	.p2align	8
	.type	_ZN9rocsparseL28csrmmnn_general_block_reduceILj1024EiiiiEEvT0_PKT1_PKT3_PT2_l16rocsparse_order_,@function
_ZN9rocsparseL28csrmmnn_general_block_reduceILj1024EiiiiEEvT0_PKT1_PKT3_PT2_l16rocsparse_order_: ; @_ZN9rocsparseL28csrmmnn_general_block_reduceILj1024EiiiiEEvT0_PKT1_PKT3_PT2_l16rocsparse_order_
; %bb.0:
	s_load_dword s33, s[4:5], 0x0
	v_lshlrev_b32_e32 v3, 2, v0
	v_mov_b32_e32 v1, -1
	v_mov_b32_e32 v2, 0
	ds_write2st64_b32 v3, v1, v2 offset1:16
	s_waitcnt lgkmcnt(0)
	v_cmp_gt_i32_e32 vcc, s33, v0
	s_barrier
	s_and_saveexec_b64 s[0:1], vcc
	s_cbranch_execz .LBB15_50
; %bb.1:
	s_load_dword s7, s[4:5], 0x28
	s_load_dwordx8 s[24:31], s[4:5], 0x8
	s_mul_i32 s38, s33, s6
	v_or_b32_e32 v4, 0x1000, v3
	s_movk_i32 s14, 0x7f
	s_waitcnt lgkmcnt(0)
	s_cmp_lg_u32 s7, 1
	s_cselect_b64 s[34:35], -1, 0
	s_ashr_i32 s7, s6, 31
	s_lshl_b64 s[36:37], s[6:7], 2
	s_add_u32 s39, s28, s36
	s_mul_hi_u32 s36, s30, s6
	s_mul_i32 s7, s30, s7
	s_addc_u32 s40, s29, s37
	s_add_i32 s7, s36, s7
	s_mul_i32 s36, s31, s6
	s_add_i32 s7, s7, s36
	s_mul_i32 s6, s30, s6
	s_lshl_b64 s[6:7], s[6:7], 2
	s_movk_i32 s16, 0xff
	s_movk_i32 s18, 0x1ff
	;; [unrolled: 1-line block ×3, first 2 shown]
	s_add_u32 s41, s28, s6
	v_cmp_ne_u32_e64 s[0:1], 0, v0
	v_add_u32_e32 v5, -4, v3
	v_add_u32_e32 v6, -4, v4
	v_cmp_lt_u32_e64 s[2:3], 1, v0
	v_add_u32_e32 v7, -8, v3
	v_add_u32_e32 v8, -8, v4
	v_cmp_lt_u32_e64 s[4:5], 3, v0
	;; [unrolled: 3-line block ×3, first 2 shown]
	v_subrev_u32_e32 v11, 32, v3
	v_subrev_u32_e32 v12, 32, v4
	v_cmp_lt_u32_e64 s[8:9], 15, v0
	v_subrev_u32_e32 v13, 64, v3
	v_subrev_u32_e32 v14, 64, v4
	v_cmp_lt_u32_e64 s[10:11], 31, v0
	v_add_u32_e32 v15, 0xffffff80, v3
	v_add_u32_e32 v16, 0xffffff80, v4
	v_cmp_lt_u32_e64 s[12:13], 63, v0
	v_add_u32_e32 v17, 0xffffff00, v3
	v_add_u32_e32 v18, 0xffffff00, v4
	v_cmp_lt_u32_e64 s[14:15], s14, v0
	v_add_u32_e32 v19, 0xfffffe00, v3
	v_add_u32_e32 v20, 0xfffffe00, v4
	v_cmp_lt_u32_e64 s[16:17], s16, v0
	v_add_u32_e32 v21, 0xfffffc00, v3
	v_add_u32_e32 v22, 0xfffffc00, v4
	v_cmp_lt_u32_e64 s[18:19], s18, v0
	v_add_u32_e32 v23, 0xfffff800, v3
	v_add_u32_e32 v24, 0xfffff800, v4
	v_cmp_ne_u32_e64 s[20:21], s20, v0
	s_addc_u32 s42, s29, s7
	s_mov_b64 s[28:29], 0
	v_mov_b32_e32 v25, s25
	v_mov_b32_e32 v26, s27
	s_branch .LBB15_3
.LBB15_2:                               ;   in Loop: Header=BB15_3 Depth=1
	s_or_b64 exec, exec, s[6:7]
	v_add_u32_e32 v0, 0x400, v0
	v_cmp_le_i32_e32 vcc, s33, v0
	s_or_b64 s[28:29], vcc, s[28:29]
	s_waitcnt vmcnt(0)
	s_barrier
	s_andn2_b64 exec, exec, s[28:29]
	s_cbranch_execz .LBB15_50
.LBB15_3:                               ; =>This Inner Loop Header: Depth=1
	v_ashrrev_i32_e32 v1, 31, v0
	v_lshlrev_b64 v[27:28], 2, v[0:1]
	v_mov_b32_e32 v1, 0
	v_add_co_u32_e32 v27, vcc, s24, v27
	v_addc_co_u32_e32 v28, vcc, v25, v28, vcc
	global_load_dword v29, v[27:28], off
	v_add_u32_e32 v27, s38, v0
	v_ashrrev_i32_e32 v28, 31, v27
	v_lshlrev_b64 v[27:28], 2, v[27:28]
	v_add_co_u32_e32 v27, vcc, s26, v27
	v_addc_co_u32_e32 v28, vcc, v26, v28, vcc
	global_load_dword v27, v[27:28], off
	s_waitcnt vmcnt(1)
	ds_write_b32 v3, v29
	s_waitcnt vmcnt(0)
	ds_write_b32 v4, v27
	v_mov_b32_e32 v27, 0
	s_waitcnt lgkmcnt(0)
	s_barrier
	s_and_saveexec_b64 s[6:7], s[0:1]
	s_cbranch_execz .LBB15_7
; %bb.4:                                ;   in Loop: Header=BB15_3 Depth=1
	ds_read2_b32 v[27:28], v5 offset1:1
	s_waitcnt lgkmcnt(0)
	v_cmp_eq_u32_e32 vcc, v28, v27
	v_mov_b32_e32 v27, 0
	s_and_saveexec_b64 s[36:37], vcc
; %bb.5:                                ;   in Loop: Header=BB15_3 Depth=1
	ds_read_b32 v27, v6
; %bb.6:                                ;   in Loop: Header=BB15_3 Depth=1
	s_or_b64 exec, exec, s[36:37]
.LBB15_7:                               ;   in Loop: Header=BB15_3 Depth=1
	s_or_b64 exec, exec, s[6:7]
	s_waitcnt lgkmcnt(0)
	s_barrier
	ds_read_b32 v28, v4
	s_waitcnt lgkmcnt(0)
	v_add_u32_e32 v27, v28, v27
	ds_write_b32 v4, v27
	s_waitcnt lgkmcnt(0)
	s_barrier
	s_and_saveexec_b64 s[6:7], s[2:3]
	s_cbranch_execz .LBB15_11
; %bb.8:                                ;   in Loop: Header=BB15_3 Depth=1
	ds_read_b32 v1, v3
	ds_read_b32 v27, v7
	s_waitcnt lgkmcnt(0)
	v_cmp_eq_u32_e32 vcc, v1, v27
	v_mov_b32_e32 v1, 0
	s_and_saveexec_b64 s[36:37], vcc
; %bb.9:                                ;   in Loop: Header=BB15_3 Depth=1
	ds_read_b32 v1, v8
; %bb.10:                               ;   in Loop: Header=BB15_3 Depth=1
	s_or_b64 exec, exec, s[36:37]
.LBB15_11:                              ;   in Loop: Header=BB15_3 Depth=1
	s_or_b64 exec, exec, s[6:7]
	s_waitcnt lgkmcnt(0)
	s_barrier
	ds_read_b32 v27, v4
	s_waitcnt lgkmcnt(0)
	v_add_u32_e32 v1, v27, v1
	ds_write_b32 v4, v1
	v_mov_b32_e32 v1, 0
	v_mov_b32_e32 v27, 0
	s_waitcnt lgkmcnt(0)
	s_barrier
	s_and_saveexec_b64 s[6:7], s[4:5]
	s_cbranch_execz .LBB15_15
; %bb.12:                               ;   in Loop: Header=BB15_3 Depth=1
	ds_read_b32 v27, v3
	ds_read_b32 v28, v9
	s_waitcnt lgkmcnt(0)
	v_cmp_eq_u32_e32 vcc, v27, v28
	v_mov_b32_e32 v27, 0
	s_and_saveexec_b64 s[36:37], vcc
; %bb.13:                               ;   in Loop: Header=BB15_3 Depth=1
	ds_read_b32 v27, v10
; %bb.14:                               ;   in Loop: Header=BB15_3 Depth=1
	s_or_b64 exec, exec, s[36:37]
.LBB15_15:                              ;   in Loop: Header=BB15_3 Depth=1
	s_or_b64 exec, exec, s[6:7]
	s_waitcnt lgkmcnt(0)
	s_barrier
	ds_read_b32 v28, v4
	s_waitcnt lgkmcnt(0)
	v_add_u32_e32 v27, v28, v27
	ds_write_b32 v4, v27
	s_waitcnt lgkmcnt(0)
	s_barrier
	s_and_saveexec_b64 s[6:7], s[22:23]
	s_cbranch_execz .LBB15_19
; %bb.16:                               ;   in Loop: Header=BB15_3 Depth=1
	ds_read_b32 v1, v3
	ds_read_b32 v27, v11
	s_waitcnt lgkmcnt(0)
	v_cmp_eq_u32_e32 vcc, v1, v27
	v_mov_b32_e32 v1, 0
	s_and_saveexec_b64 s[36:37], vcc
; %bb.17:                               ;   in Loop: Header=BB15_3 Depth=1
	ds_read_b32 v1, v12
; %bb.18:                               ;   in Loop: Header=BB15_3 Depth=1
	s_or_b64 exec, exec, s[36:37]
.LBB15_19:                              ;   in Loop: Header=BB15_3 Depth=1
	s_or_b64 exec, exec, s[6:7]
	s_waitcnt lgkmcnt(0)
	s_barrier
	ds_read_b32 v27, v4
	s_waitcnt lgkmcnt(0)
	v_add_u32_e32 v1, v27, v1
	ds_write_b32 v4, v1
	v_mov_b32_e32 v1, 0
	v_mov_b32_e32 v27, 0
	s_waitcnt lgkmcnt(0)
	s_barrier
	s_and_saveexec_b64 s[6:7], s[8:9]
	s_cbranch_execz .LBB15_23
; %bb.20:                               ;   in Loop: Header=BB15_3 Depth=1
	ds_read_b32 v27, v3
	ds_read_b32 v28, v13
	s_waitcnt lgkmcnt(0)
	v_cmp_eq_u32_e32 vcc, v27, v28
	v_mov_b32_e32 v27, 0
	s_and_saveexec_b64 s[36:37], vcc
; %bb.21:                               ;   in Loop: Header=BB15_3 Depth=1
	ds_read_b32 v27, v14
; %bb.22:                               ;   in Loop: Header=BB15_3 Depth=1
	s_or_b64 exec, exec, s[36:37]
.LBB15_23:                              ;   in Loop: Header=BB15_3 Depth=1
	s_or_b64 exec, exec, s[6:7]
	s_waitcnt lgkmcnt(0)
	s_barrier
	ds_read_b32 v28, v4
	s_waitcnt lgkmcnt(0)
	v_add_u32_e32 v27, v28, v27
	ds_write_b32 v4, v27
	s_waitcnt lgkmcnt(0)
	s_barrier
	s_and_saveexec_b64 s[6:7], s[10:11]
	s_cbranch_execz .LBB15_27
; %bb.24:                               ;   in Loop: Header=BB15_3 Depth=1
	ds_read_b32 v1, v3
	ds_read_b32 v27, v15
	s_waitcnt lgkmcnt(0)
	v_cmp_eq_u32_e32 vcc, v1, v27
	v_mov_b32_e32 v1, 0
	s_and_saveexec_b64 s[36:37], vcc
; %bb.25:                               ;   in Loop: Header=BB15_3 Depth=1
	ds_read_b32 v1, v16
; %bb.26:                               ;   in Loop: Header=BB15_3 Depth=1
	s_or_b64 exec, exec, s[36:37]
.LBB15_27:                              ;   in Loop: Header=BB15_3 Depth=1
	;; [unrolled: 48-line block ×4, first 2 shown]
	s_or_b64 exec, exec, s[6:7]
	s_waitcnt lgkmcnt(0)
	s_barrier
	ds_read_b32 v27, v4
	s_waitcnt lgkmcnt(0)
	v_add_u32_e32 v1, v27, v1
	ds_write_b32 v4, v1
	s_waitcnt lgkmcnt(0)
	s_barrier
	ds_read_b32 v1, v3
	v_mov_b32_e32 v27, -1
	s_and_saveexec_b64 s[6:7], s[20:21]
; %bb.44:                               ;   in Loop: Header=BB15_3 Depth=1
	ds_read_b32 v27, v3 offset:4
; %bb.45:                               ;   in Loop: Header=BB15_3 Depth=1
	s_or_b64 exec, exec, s[6:7]
	s_waitcnt lgkmcnt(0)
	v_cmp_ne_u32_e32 vcc, v1, v27
	v_cmp_lt_i32_e64 s[6:7], -1, v1
	s_and_b64 s[36:37], s[6:7], vcc
	s_and_saveexec_b64 s[6:7], s[36:37]
	s_cbranch_execz .LBB15_2
; %bb.46:                               ;   in Loop: Header=BB15_3 Depth=1
	s_mov_b64 s[36:37], -1
	s_and_b64 vcc, exec, s[34:35]
	s_cbranch_vccz .LBB15_48
; %bb.47:                               ;   in Loop: Header=BB15_3 Depth=1
	v_mad_u64_u32 v[27:28], s[36:37], s30, v1, 0
	ds_read_b32 v30, v4
	v_mad_u64_u32 v[28:29], s[36:37], s31, v1, v[28:29]
	v_mov_b32_e32 v29, s40
	s_mov_b64 s[36:37], 0
	v_lshlrev_b64 v[27:28], 2, v[27:28]
	v_add_co_u32_e32 v27, vcc, s39, v27
	v_addc_co_u32_e32 v28, vcc, v29, v28, vcc
	global_load_dword v29, v[27:28], off
	s_waitcnt vmcnt(0) lgkmcnt(0)
	v_add_u32_e32 v29, v30, v29
	global_store_dword v[27:28], v29, off
.LBB15_48:                              ;   in Loop: Header=BB15_3 Depth=1
	s_andn2_b64 vcc, exec, s[36:37]
	s_cbranch_vccnz .LBB15_2
; %bb.49:                               ;   in Loop: Header=BB15_3 Depth=1
	v_lshlrev_b64 v[27:28], 2, v[1:2]
	v_mov_b32_e32 v1, s42
	v_add_co_u32_e32 v27, vcc, s41, v27
	v_addc_co_u32_e32 v28, vcc, v1, v28, vcc
	global_load_dword v1, v[27:28], off
	ds_read_b32 v29, v4
	s_waitcnt vmcnt(0) lgkmcnt(0)
	v_add_u32_e32 v1, v29, v1
	global_store_dword v[27:28], v1, off
	s_branch .LBB15_2
.LBB15_50:
	s_endpgm
	.section	.rodata,"a",@progbits
	.p2align	6, 0x0
	.amdhsa_kernel _ZN9rocsparseL28csrmmnn_general_block_reduceILj1024EiiiiEEvT0_PKT1_PKT3_PT2_l16rocsparse_order_
		.amdhsa_group_segment_fixed_size 8192
		.amdhsa_private_segment_fixed_size 0
		.amdhsa_kernarg_size 44
		.amdhsa_user_sgpr_count 6
		.amdhsa_user_sgpr_private_segment_buffer 1
		.amdhsa_user_sgpr_dispatch_ptr 0
		.amdhsa_user_sgpr_queue_ptr 0
		.amdhsa_user_sgpr_kernarg_segment_ptr 1
		.amdhsa_user_sgpr_dispatch_id 0
		.amdhsa_user_sgpr_flat_scratch_init 0
		.amdhsa_user_sgpr_private_segment_size 0
		.amdhsa_uses_dynamic_stack 0
		.amdhsa_system_sgpr_private_segment_wavefront_offset 0
		.amdhsa_system_sgpr_workgroup_id_x 1
		.amdhsa_system_sgpr_workgroup_id_y 0
		.amdhsa_system_sgpr_workgroup_id_z 0
		.amdhsa_system_sgpr_workgroup_info 0
		.amdhsa_system_vgpr_workitem_id 0
		.amdhsa_next_free_vgpr 31
		.amdhsa_next_free_sgpr 61
		.amdhsa_reserve_vcc 1
		.amdhsa_reserve_flat_scratch 0
		.amdhsa_float_round_mode_32 0
		.amdhsa_float_round_mode_16_64 0
		.amdhsa_float_denorm_mode_32 3
		.amdhsa_float_denorm_mode_16_64 3
		.amdhsa_dx10_clamp 1
		.amdhsa_ieee_mode 1
		.amdhsa_fp16_overflow 0
		.amdhsa_exception_fp_ieee_invalid_op 0
		.amdhsa_exception_fp_denorm_src 0
		.amdhsa_exception_fp_ieee_div_zero 0
		.amdhsa_exception_fp_ieee_overflow 0
		.amdhsa_exception_fp_ieee_underflow 0
		.amdhsa_exception_fp_ieee_inexact 0
		.amdhsa_exception_int_div_zero 0
	.end_amdhsa_kernel
	.section	.text._ZN9rocsparseL28csrmmnn_general_block_reduceILj1024EiiiiEEvT0_PKT1_PKT3_PT2_l16rocsparse_order_,"axG",@progbits,_ZN9rocsparseL28csrmmnn_general_block_reduceILj1024EiiiiEEvT0_PKT1_PKT3_PT2_l16rocsparse_order_,comdat
.Lfunc_end15:
	.size	_ZN9rocsparseL28csrmmnn_general_block_reduceILj1024EiiiiEEvT0_PKT1_PKT3_PT2_l16rocsparse_order_, .Lfunc_end15-_ZN9rocsparseL28csrmmnn_general_block_reduceILj1024EiiiiEEvT0_PKT1_PKT3_PT2_l16rocsparse_order_
                                        ; -- End function
	.set _ZN9rocsparseL28csrmmnn_general_block_reduceILj1024EiiiiEEvT0_PKT1_PKT3_PT2_l16rocsparse_order_.num_vgpr, 31
	.set _ZN9rocsparseL28csrmmnn_general_block_reduceILj1024EiiiiEEvT0_PKT1_PKT3_PT2_l16rocsparse_order_.num_agpr, 0
	.set _ZN9rocsparseL28csrmmnn_general_block_reduceILj1024EiiiiEEvT0_PKT1_PKT3_PT2_l16rocsparse_order_.numbered_sgpr, 43
	.set _ZN9rocsparseL28csrmmnn_general_block_reduceILj1024EiiiiEEvT0_PKT1_PKT3_PT2_l16rocsparse_order_.num_named_barrier, 0
	.set _ZN9rocsparseL28csrmmnn_general_block_reduceILj1024EiiiiEEvT0_PKT1_PKT3_PT2_l16rocsparse_order_.private_seg_size, 0
	.set _ZN9rocsparseL28csrmmnn_general_block_reduceILj1024EiiiiEEvT0_PKT1_PKT3_PT2_l16rocsparse_order_.uses_vcc, 1
	.set _ZN9rocsparseL28csrmmnn_general_block_reduceILj1024EiiiiEEvT0_PKT1_PKT3_PT2_l16rocsparse_order_.uses_flat_scratch, 0
	.set _ZN9rocsparseL28csrmmnn_general_block_reduceILj1024EiiiiEEvT0_PKT1_PKT3_PT2_l16rocsparse_order_.has_dyn_sized_stack, 0
	.set _ZN9rocsparseL28csrmmnn_general_block_reduceILj1024EiiiiEEvT0_PKT1_PKT3_PT2_l16rocsparse_order_.has_recursion, 0
	.set _ZN9rocsparseL28csrmmnn_general_block_reduceILj1024EiiiiEEvT0_PKT1_PKT3_PT2_l16rocsparse_order_.has_indirect_call, 0
	.section	.AMDGPU.csdata,"",@progbits
; Kernel info:
; codeLenInByte = 1708
; TotalNumSgprs: 47
; NumVgprs: 31
; ScratchSize: 0
; MemoryBound: 0
; FloatMode: 240
; IeeeMode: 1
; LDSByteSize: 8192 bytes/workgroup (compile time only)
; SGPRBlocks: 8
; VGPRBlocks: 7
; NumSGPRsForWavesPerEU: 65
; NumVGPRsForWavesPerEU: 31
; Occupancy: 8
; WaveLimiterHint : 0
; COMPUTE_PGM_RSRC2:SCRATCH_EN: 0
; COMPUTE_PGM_RSRC2:USER_SGPR: 6
; COMPUTE_PGM_RSRC2:TRAP_HANDLER: 0
; COMPUTE_PGM_RSRC2:TGID_X_EN: 1
; COMPUTE_PGM_RSRC2:TGID_Y_EN: 0
; COMPUTE_PGM_RSRC2:TGID_Z_EN: 0
; COMPUTE_PGM_RSRC2:TIDIG_COMP_CNT: 0
	.section	.text._ZN9rocsparseL28csrmmnn_general_block_reduceILj1024EliiiEEvT0_PKT1_PKT3_PT2_l16rocsparse_order_,"axG",@progbits,_ZN9rocsparseL28csrmmnn_general_block_reduceILj1024EliiiEEvT0_PKT1_PKT3_PT2_l16rocsparse_order_,comdat
	.globl	_ZN9rocsparseL28csrmmnn_general_block_reduceILj1024EliiiEEvT0_PKT1_PKT3_PT2_l16rocsparse_order_ ; -- Begin function _ZN9rocsparseL28csrmmnn_general_block_reduceILj1024EliiiEEvT0_PKT1_PKT3_PT2_l16rocsparse_order_
	.p2align	8
	.type	_ZN9rocsparseL28csrmmnn_general_block_reduceILj1024EliiiEEvT0_PKT1_PKT3_PT2_l16rocsparse_order_,@function
_ZN9rocsparseL28csrmmnn_general_block_reduceILj1024EliiiEEvT0_PKT1_PKT3_PT2_l16rocsparse_order_: ; @_ZN9rocsparseL28csrmmnn_general_block_reduceILj1024EliiiEEvT0_PKT1_PKT3_PT2_l16rocsparse_order_
; %bb.0:
	s_load_dwordx2 s[34:35], s[4:5], 0x0
	v_mov_b32_e32 v1, 0
	v_mov_b32_e32 v2, -1
	v_lshlrev_b32_e32 v10, 3, v0
	v_mov_b32_e32 v3, v2
	s_waitcnt lgkmcnt(0)
	v_cmp_gt_i64_e32 vcc, s[34:35], v[0:1]
	ds_write_b64 v10, v[2:3]
	v_lshlrev_b32_e32 v2, 2, v0
	ds_write_b32 v2, v1 offset:8192
	s_waitcnt lgkmcnt(0)
	s_barrier
	s_and_saveexec_b64 s[0:1], vcc
	s_cbranch_execz .LBB16_50
; %bb.1:
	s_load_dwordx8 s[24:31], s[4:5], 0x8
	s_load_dword s20, s[4:5], 0x28
	s_mov_b32 s7, 0
	s_lshl_b64 s[0:1], s[6:7], 2
	s_movk_i32 s7, 0x7f
	s_waitcnt lgkmcnt(0)
	s_add_u32 s33, s28, s0
	v_cmp_lt_u32_e64 s[14:15], s7, v0
	s_movk_i32 s7, 0xff
	s_addc_u32 s38, s29, s1
	v_cmp_lt_u32_e64 s[16:17], s7, v0
	s_movk_i32 s7, 0x1ff
	v_cmp_lt_u32_e64 s[18:19], s7, v0
	s_cmp_lg_u32 s20, 1
	s_mul_i32 s7, s31, s6
	s_mul_hi_u32 s20, s30, s6
	s_cselect_b64 s[36:37], -1, 0
	s_add_i32 s21, s20, s7
	s_mul_i32 s20, s30, s6
	s_lshl_b64 s[20:21], s[20:21], 2
	s_add_u32 s28, s28, s20
	s_mul_i32 s7, s35, s6
	s_mul_hi_u32 s20, s34, s6
	s_addc_u32 s29, s29, s21
	s_add_i32 s7, s20, s7
	s_mul_i32 s6, s34, s6
	s_lshl_b64 s[6:7], s[6:7], 2
	s_add_u32 s6, s26, s6
	v_lshlrev_b32_e32 v4, 2, v0
	s_addc_u32 s7, s27, s7
	v_or_b32_e32 v11, 0x2000, v2
	v_mov_b32_e32 v3, s7
	v_add_co_u32_e32 v2, vcc, s6, v4
	v_addc_co_u32_e32 v3, vcc, 0, v3, vcc
	v_mov_b32_e32 v5, s25
	v_add_co_u32_e32 v4, vcc, s24, v4
	s_movk_i32 s6, 0x3ff
	v_cmp_ne_u32_e64 s[0:1], 0, v0
	v_cmp_lt_u32_e64 s[2:3], 1, v0
	v_add_u32_e32 v12, -8, v11
	v_cmp_lt_u32_e64 s[4:5], 3, v0
	v_subrev_u32_e32 v13, 32, v10
	v_add_u32_e32 v14, -16, v11
	v_cmp_lt_u32_e64 s[22:23], 7, v0
	v_subrev_u32_e32 v15, 64, v10
	v_subrev_u32_e32 v16, 32, v11
	v_cmp_lt_u32_e64 s[8:9], 15, v0
	v_add_u32_e32 v17, 0xffffff80, v10
	v_subrev_u32_e32 v18, 64, v11
	v_cmp_lt_u32_e64 s[10:11], 31, v0
	v_add_u32_e32 v19, 0xffffff00, v10
	v_add_u32_e32 v20, 0xffffff80, v11
	v_cmp_lt_u32_e64 s[12:13], 63, v0
	v_add_u32_e32 v21, 0xfffffe00, v10
	v_add_u32_e32 v22, 0xffffff00, v11
	;; [unrolled: 1-line block ×7, first 2 shown]
	v_addc_co_u32_e32 v5, vcc, 0, v5, vcc
	v_add_u32_e32 v28, 0xfffff800, v11
	v_cmp_ne_u32_e64 s[20:21], s6, v0
	s_mov_b64 s[24:25], 0
	s_branch .LBB16_3
.LBB16_2:                               ;   in Loop: Header=BB16_3 Depth=1
	s_or_b64 exec, exec, s[6:7]
	v_add_co_u32_e32 v0, vcc, 0x400, v0
	v_addc_co_u32_e32 v1, vcc, 0, v1, vcc
	v_add_co_u32_e32 v2, vcc, 0x1000, v2
	v_addc_co_u32_e32 v3, vcc, 0, v3, vcc
	v_cmp_le_i64_e64 s[6:7], s[34:35], v[0:1]
	v_add_co_u32_e32 v4, vcc, 0x1000, v4
	s_or_b64 s[24:25], s[6:7], s[24:25]
	v_addc_co_u32_e32 v5, vcc, 0, v5, vcc
	s_waitcnt vmcnt(0)
	s_barrier
	s_andn2_b64 exec, exec, s[24:25]
	s_cbranch_execz .LBB16_50
.LBB16_3:                               ; =>This Inner Loop Header: Depth=1
	global_load_dword v7, v[4:5], off
	global_load_dword v9, v[2:3], off
	v_mov_b32_e32 v6, 0
	s_waitcnt vmcnt(1)
	v_ashrrev_i32_e32 v8, 31, v7
	s_waitcnt vmcnt(0)
	ds_write_b32 v11, v9
	ds_write_b64 v10, v[7:8]
	v_mov_b32_e32 v7, 0
	s_waitcnt lgkmcnt(0)
	s_barrier
	s_and_saveexec_b64 s[6:7], s[0:1]
	s_cbranch_execz .LBB16_7
; %bb.4:                                ;   in Loop: Header=BB16_3 Depth=1
	v_add_u32_e32 v7, -8, v10
	ds_read2_b64 v[29:32], v7 offset1:1
	v_mov_b32_e32 v7, 0
	s_waitcnt lgkmcnt(0)
	v_cmp_eq_u64_e32 vcc, v[31:32], v[29:30]
	s_and_saveexec_b64 s[26:27], vcc
; %bb.5:                                ;   in Loop: Header=BB16_3 Depth=1
	v_add_u32_e32 v7, -4, v11
	ds_read_b32 v7, v7
; %bb.6:                                ;   in Loop: Header=BB16_3 Depth=1
	s_or_b64 exec, exec, s[26:27]
.LBB16_7:                               ;   in Loop: Header=BB16_3 Depth=1
	s_or_b64 exec, exec, s[6:7]
	s_waitcnt lgkmcnt(0)
	s_barrier
	ds_read_b32 v8, v11
	s_waitcnt lgkmcnt(0)
	v_add_u32_e32 v7, v8, v7
	ds_write_b32 v11, v7
	s_waitcnt lgkmcnt(0)
	s_barrier
	s_and_saveexec_b64 s[6:7], s[2:3]
	s_cbranch_execz .LBB16_11
; %bb.8:                                ;   in Loop: Header=BB16_3 Depth=1
	v_add_u32_e32 v8, -16, v10
	ds_read_b64 v[6:7], v10
	ds_read_b64 v[8:9], v8
	s_waitcnt lgkmcnt(0)
	v_cmp_eq_u64_e32 vcc, v[6:7], v[8:9]
	v_mov_b32_e32 v6, 0
	s_and_saveexec_b64 s[26:27], vcc
; %bb.9:                                ;   in Loop: Header=BB16_3 Depth=1
	ds_read_b32 v6, v12
; %bb.10:                               ;   in Loop: Header=BB16_3 Depth=1
	s_or_b64 exec, exec, s[26:27]
.LBB16_11:                              ;   in Loop: Header=BB16_3 Depth=1
	s_or_b64 exec, exec, s[6:7]
	s_waitcnt lgkmcnt(0)
	s_barrier
	ds_read_b32 v7, v11
	s_waitcnt lgkmcnt(0)
	v_add_u32_e32 v6, v7, v6
	ds_write_b32 v11, v6
	v_mov_b32_e32 v6, 0
	v_mov_b32_e32 v7, 0
	s_waitcnt lgkmcnt(0)
	s_barrier
	s_and_saveexec_b64 s[6:7], s[4:5]
	s_cbranch_execz .LBB16_15
; %bb.12:                               ;   in Loop: Header=BB16_3 Depth=1
	ds_read_b64 v[7:8], v10
	ds_read_b64 v[29:30], v13
	s_waitcnt lgkmcnt(0)
	v_cmp_eq_u64_e32 vcc, v[7:8], v[29:30]
	v_mov_b32_e32 v7, 0
	s_and_saveexec_b64 s[26:27], vcc
; %bb.13:                               ;   in Loop: Header=BB16_3 Depth=1
	ds_read_b32 v7, v14
; %bb.14:                               ;   in Loop: Header=BB16_3 Depth=1
	s_or_b64 exec, exec, s[26:27]
.LBB16_15:                              ;   in Loop: Header=BB16_3 Depth=1
	s_or_b64 exec, exec, s[6:7]
	s_waitcnt lgkmcnt(0)
	s_barrier
	ds_read_b32 v8, v11
	s_waitcnt lgkmcnt(0)
	v_add_u32_e32 v7, v8, v7
	ds_write_b32 v11, v7
	s_waitcnt lgkmcnt(0)
	s_barrier
	s_and_saveexec_b64 s[6:7], s[22:23]
	s_cbranch_execz .LBB16_19
; %bb.16:                               ;   in Loop: Header=BB16_3 Depth=1
	ds_read_b64 v[6:7], v10
	ds_read_b64 v[8:9], v15
	s_waitcnt lgkmcnt(0)
	v_cmp_eq_u64_e32 vcc, v[6:7], v[8:9]
	v_mov_b32_e32 v6, 0
	s_and_saveexec_b64 s[26:27], vcc
; %bb.17:                               ;   in Loop: Header=BB16_3 Depth=1
	ds_read_b32 v6, v16
; %bb.18:                               ;   in Loop: Header=BB16_3 Depth=1
	s_or_b64 exec, exec, s[26:27]
.LBB16_19:                              ;   in Loop: Header=BB16_3 Depth=1
	s_or_b64 exec, exec, s[6:7]
	s_waitcnt lgkmcnt(0)
	s_barrier
	ds_read_b32 v7, v11
	s_waitcnt lgkmcnt(0)
	v_add_u32_e32 v6, v7, v6
	ds_write_b32 v11, v6
	v_mov_b32_e32 v6, 0
	v_mov_b32_e32 v7, 0
	s_waitcnt lgkmcnt(0)
	s_barrier
	s_and_saveexec_b64 s[6:7], s[8:9]
	s_cbranch_execz .LBB16_23
; %bb.20:                               ;   in Loop: Header=BB16_3 Depth=1
	ds_read_b64 v[7:8], v10
	ds_read_b64 v[29:30], v17
	s_waitcnt lgkmcnt(0)
	v_cmp_eq_u64_e32 vcc, v[7:8], v[29:30]
	v_mov_b32_e32 v7, 0
	s_and_saveexec_b64 s[26:27], vcc
; %bb.21:                               ;   in Loop: Header=BB16_3 Depth=1
	ds_read_b32 v7, v18
; %bb.22:                               ;   in Loop: Header=BB16_3 Depth=1
	s_or_b64 exec, exec, s[26:27]
.LBB16_23:                              ;   in Loop: Header=BB16_3 Depth=1
	s_or_b64 exec, exec, s[6:7]
	s_waitcnt lgkmcnt(0)
	s_barrier
	ds_read_b32 v8, v11
	s_waitcnt lgkmcnt(0)
	v_add_u32_e32 v7, v8, v7
	ds_write_b32 v11, v7
	s_waitcnt lgkmcnt(0)
	s_barrier
	s_and_saveexec_b64 s[6:7], s[10:11]
	s_cbranch_execz .LBB16_27
; %bb.24:                               ;   in Loop: Header=BB16_3 Depth=1
	ds_read_b64 v[6:7], v10
	ds_read_b64 v[8:9], v19
	s_waitcnt lgkmcnt(0)
	v_cmp_eq_u64_e32 vcc, v[6:7], v[8:9]
	v_mov_b32_e32 v6, 0
	s_and_saveexec_b64 s[26:27], vcc
; %bb.25:                               ;   in Loop: Header=BB16_3 Depth=1
	ds_read_b32 v6, v20
; %bb.26:                               ;   in Loop: Header=BB16_3 Depth=1
	s_or_b64 exec, exec, s[26:27]
.LBB16_27:                              ;   in Loop: Header=BB16_3 Depth=1
	;; [unrolled: 48-line block ×4, first 2 shown]
	s_or_b64 exec, exec, s[6:7]
	s_waitcnt lgkmcnt(0)
	s_barrier
	ds_read_b32 v7, v11
	v_mov_b32_e32 v8, -1
	v_mov_b32_e32 v9, -1
	s_waitcnt lgkmcnt(0)
	v_add_u32_e32 v6, v7, v6
	ds_write_b32 v11, v6
	s_waitcnt lgkmcnt(0)
	s_barrier
	ds_read_b64 v[6:7], v10
	s_and_saveexec_b64 s[6:7], s[20:21]
; %bb.44:                               ;   in Loop: Header=BB16_3 Depth=1
	ds_read_b64 v[8:9], v10 offset:8
; %bb.45:                               ;   in Loop: Header=BB16_3 Depth=1
	s_or_b64 exec, exec, s[6:7]
	s_waitcnt lgkmcnt(0)
	v_cmp_ne_u64_e32 vcc, v[6:7], v[8:9]
	v_cmp_lt_i64_e64 s[6:7], -1, v[6:7]
	s_and_b64 s[26:27], s[6:7], vcc
	s_and_saveexec_b64 s[6:7], s[26:27]
	s_cbranch_execz .LBB16_2
; %bb.46:                               ;   in Loop: Header=BB16_3 Depth=1
	s_mov_b64 s[26:27], -1
	s_and_b64 vcc, exec, s[36:37]
	s_cbranch_vccz .LBB16_48
; %bb.47:                               ;   in Loop: Header=BB16_3 Depth=1
	v_mul_lo_u32 v29, v7, s30
	v_mul_lo_u32 v30, v6, s31
	v_mad_u64_u32 v[8:9], s[26:27], v6, s30, 0
	s_mov_b64 s[26:27], 0
	v_add3_u32 v9, v9, v30, v29
	v_lshlrev_b64 v[8:9], 2, v[8:9]
	v_mov_b32_e32 v29, s38
	v_add_co_u32_e32 v8, vcc, s33, v8
	v_addc_co_u32_e32 v9, vcc, v29, v9, vcc
	global_load_dword v29, v[8:9], off
	ds_read_b32 v30, v11
	s_waitcnt vmcnt(0) lgkmcnt(0)
	v_add_u32_e32 v29, v30, v29
	global_store_dword v[8:9], v29, off
.LBB16_48:                              ;   in Loop: Header=BB16_3 Depth=1
	s_andn2_b64 vcc, exec, s[26:27]
	s_cbranch_vccnz .LBB16_2
; %bb.49:                               ;   in Loop: Header=BB16_3 Depth=1
	v_lshlrev_b64 v[6:7], 2, v[6:7]
	v_mov_b32_e32 v8, s29
	v_add_co_u32_e32 v6, vcc, s28, v6
	v_addc_co_u32_e32 v7, vcc, v8, v7, vcc
	global_load_dword v8, v[6:7], off
	ds_read_b32 v9, v11
	s_waitcnt vmcnt(0) lgkmcnt(0)
	v_add_u32_e32 v8, v9, v8
	global_store_dword v[6:7], v8, off
	s_branch .LBB16_2
.LBB16_50:
	s_endpgm
	.section	.rodata,"a",@progbits
	.p2align	6, 0x0
	.amdhsa_kernel _ZN9rocsparseL28csrmmnn_general_block_reduceILj1024EliiiEEvT0_PKT1_PKT3_PT2_l16rocsparse_order_
		.amdhsa_group_segment_fixed_size 12288
		.amdhsa_private_segment_fixed_size 0
		.amdhsa_kernarg_size 44
		.amdhsa_user_sgpr_count 6
		.amdhsa_user_sgpr_private_segment_buffer 1
		.amdhsa_user_sgpr_dispatch_ptr 0
		.amdhsa_user_sgpr_queue_ptr 0
		.amdhsa_user_sgpr_kernarg_segment_ptr 1
		.amdhsa_user_sgpr_dispatch_id 0
		.amdhsa_user_sgpr_flat_scratch_init 0
		.amdhsa_user_sgpr_private_segment_size 0
		.amdhsa_uses_dynamic_stack 0
		.amdhsa_system_sgpr_private_segment_wavefront_offset 0
		.amdhsa_system_sgpr_workgroup_id_x 1
		.amdhsa_system_sgpr_workgroup_id_y 0
		.amdhsa_system_sgpr_workgroup_id_z 0
		.amdhsa_system_sgpr_workgroup_info 0
		.amdhsa_system_vgpr_workitem_id 0
		.amdhsa_next_free_vgpr 33
		.amdhsa_next_free_sgpr 61
		.amdhsa_reserve_vcc 1
		.amdhsa_reserve_flat_scratch 0
		.amdhsa_float_round_mode_32 0
		.amdhsa_float_round_mode_16_64 0
		.amdhsa_float_denorm_mode_32 3
		.amdhsa_float_denorm_mode_16_64 3
		.amdhsa_dx10_clamp 1
		.amdhsa_ieee_mode 1
		.amdhsa_fp16_overflow 0
		.amdhsa_exception_fp_ieee_invalid_op 0
		.amdhsa_exception_fp_denorm_src 0
		.amdhsa_exception_fp_ieee_div_zero 0
		.amdhsa_exception_fp_ieee_overflow 0
		.amdhsa_exception_fp_ieee_underflow 0
		.amdhsa_exception_fp_ieee_inexact 0
		.amdhsa_exception_int_div_zero 0
	.end_amdhsa_kernel
	.section	.text._ZN9rocsparseL28csrmmnn_general_block_reduceILj1024EliiiEEvT0_PKT1_PKT3_PT2_l16rocsparse_order_,"axG",@progbits,_ZN9rocsparseL28csrmmnn_general_block_reduceILj1024EliiiEEvT0_PKT1_PKT3_PT2_l16rocsparse_order_,comdat
.Lfunc_end16:
	.size	_ZN9rocsparseL28csrmmnn_general_block_reduceILj1024EliiiEEvT0_PKT1_PKT3_PT2_l16rocsparse_order_, .Lfunc_end16-_ZN9rocsparseL28csrmmnn_general_block_reduceILj1024EliiiEEvT0_PKT1_PKT3_PT2_l16rocsparse_order_
                                        ; -- End function
	.set _ZN9rocsparseL28csrmmnn_general_block_reduceILj1024EliiiEEvT0_PKT1_PKT3_PT2_l16rocsparse_order_.num_vgpr, 33
	.set _ZN9rocsparseL28csrmmnn_general_block_reduceILj1024EliiiEEvT0_PKT1_PKT3_PT2_l16rocsparse_order_.num_agpr, 0
	.set _ZN9rocsparseL28csrmmnn_general_block_reduceILj1024EliiiEEvT0_PKT1_PKT3_PT2_l16rocsparse_order_.numbered_sgpr, 39
	.set _ZN9rocsparseL28csrmmnn_general_block_reduceILj1024EliiiEEvT0_PKT1_PKT3_PT2_l16rocsparse_order_.num_named_barrier, 0
	.set _ZN9rocsparseL28csrmmnn_general_block_reduceILj1024EliiiEEvT0_PKT1_PKT3_PT2_l16rocsparse_order_.private_seg_size, 0
	.set _ZN9rocsparseL28csrmmnn_general_block_reduceILj1024EliiiEEvT0_PKT1_PKT3_PT2_l16rocsparse_order_.uses_vcc, 1
	.set _ZN9rocsparseL28csrmmnn_general_block_reduceILj1024EliiiEEvT0_PKT1_PKT3_PT2_l16rocsparse_order_.uses_flat_scratch, 0
	.set _ZN9rocsparseL28csrmmnn_general_block_reduceILj1024EliiiEEvT0_PKT1_PKT3_PT2_l16rocsparse_order_.has_dyn_sized_stack, 0
	.set _ZN9rocsparseL28csrmmnn_general_block_reduceILj1024EliiiEEvT0_PKT1_PKT3_PT2_l16rocsparse_order_.has_recursion, 0
	.set _ZN9rocsparseL28csrmmnn_general_block_reduceILj1024EliiiEEvT0_PKT1_PKT3_PT2_l16rocsparse_order_.has_indirect_call, 0
	.section	.AMDGPU.csdata,"",@progbits
; Kernel info:
; codeLenInByte = 1780
; TotalNumSgprs: 43
; NumVgprs: 33
; ScratchSize: 0
; MemoryBound: 0
; FloatMode: 240
; IeeeMode: 1
; LDSByteSize: 12288 bytes/workgroup (compile time only)
; SGPRBlocks: 8
; VGPRBlocks: 8
; NumSGPRsForWavesPerEU: 65
; NumVGPRsForWavesPerEU: 33
; Occupancy: 7
; WaveLimiterHint : 0
; COMPUTE_PGM_RSRC2:SCRATCH_EN: 0
; COMPUTE_PGM_RSRC2:USER_SGPR: 6
; COMPUTE_PGM_RSRC2:TRAP_HANDLER: 0
; COMPUTE_PGM_RSRC2:TGID_X_EN: 1
; COMPUTE_PGM_RSRC2:TGID_Y_EN: 0
; COMPUTE_PGM_RSRC2:TGID_Z_EN: 0
; COMPUTE_PGM_RSRC2:TIDIG_COMP_CNT: 0
	.section	.text._ZN9rocsparseL28csrmmnn_general_block_reduceILj1024ElliiEEvT0_PKT1_PKT3_PT2_l16rocsparse_order_,"axG",@progbits,_ZN9rocsparseL28csrmmnn_general_block_reduceILj1024ElliiEEvT0_PKT1_PKT3_PT2_l16rocsparse_order_,comdat
	.globl	_ZN9rocsparseL28csrmmnn_general_block_reduceILj1024ElliiEEvT0_PKT1_PKT3_PT2_l16rocsparse_order_ ; -- Begin function _ZN9rocsparseL28csrmmnn_general_block_reduceILj1024ElliiEEvT0_PKT1_PKT3_PT2_l16rocsparse_order_
	.p2align	8
	.type	_ZN9rocsparseL28csrmmnn_general_block_reduceILj1024ElliiEEvT0_PKT1_PKT3_PT2_l16rocsparse_order_,@function
_ZN9rocsparseL28csrmmnn_general_block_reduceILj1024ElliiEEvT0_PKT1_PKT3_PT2_l16rocsparse_order_: ; @_ZN9rocsparseL28csrmmnn_general_block_reduceILj1024ElliiEEvT0_PKT1_PKT3_PT2_l16rocsparse_order_
; %bb.0:
	s_load_dwordx2 s[34:35], s[4:5], 0x0
	v_mov_b32_e32 v1, 0
	v_mov_b32_e32 v2, -1
	v_lshlrev_b32_e32 v10, 3, v0
	v_mov_b32_e32 v3, v2
	s_waitcnt lgkmcnt(0)
	v_cmp_gt_i64_e32 vcc, s[34:35], v[0:1]
	ds_write_b64 v10, v[2:3]
	v_lshlrev_b32_e32 v2, 2, v0
	ds_write_b32 v2, v1 offset:8192
	s_waitcnt lgkmcnt(0)
	s_barrier
	s_and_saveexec_b64 s[0:1], vcc
	s_cbranch_execz .LBB17_50
; %bb.1:
	s_load_dwordx8 s[24:31], s[4:5], 0x8
	s_load_dword s20, s[4:5], 0x28
	s_mov_b32 s7, 0
	s_lshl_b64 s[0:1], s[6:7], 2
	s_movk_i32 s7, 0x7f
	s_waitcnt lgkmcnt(0)
	s_add_u32 s33, s28, s0
	v_cmp_lt_u32_e64 s[14:15], s7, v0
	s_movk_i32 s7, 0xff
	s_addc_u32 s38, s29, s1
	v_cmp_lt_u32_e64 s[16:17], s7, v0
	s_movk_i32 s7, 0x1ff
	v_cmp_lt_u32_e64 s[18:19], s7, v0
	s_cmp_lg_u32 s20, 1
	s_mul_i32 s7, s31, s6
	s_mul_hi_u32 s20, s30, s6
	s_cselect_b64 s[36:37], -1, 0
	s_add_i32 s21, s20, s7
	s_mul_i32 s20, s30, s6
	s_lshl_b64 s[20:21], s[20:21], 2
	s_add_u32 s28, s28, s20
	s_mul_i32 s7, s35, s6
	s_mul_hi_u32 s20, s34, s6
	s_addc_u32 s29, s29, s21
	s_add_i32 s7, s20, s7
	s_mul_i32 s6, s34, s6
	s_lshl_b64 s[6:7], s[6:7], 2
	s_add_u32 s6, s26, s6
	v_or_b32_e32 v11, 0x2000, v2
	v_lshlrev_b32_e32 v2, 2, v0
	s_addc_u32 s7, s27, s7
	v_mov_b32_e32 v3, s7
	v_add_co_u32_e32 v2, vcc, s6, v2
	v_addc_co_u32_e32 v3, vcc, 0, v3, vcc
	v_lshlrev_b32_e32 v4, 3, v0
	v_mov_b32_e32 v5, s25
	v_add_co_u32_e32 v4, vcc, s24, v4
	s_movk_i32 s6, 0x3ff
	v_cmp_ne_u32_e64 s[0:1], 0, v0
	v_cmp_lt_u32_e64 s[2:3], 1, v0
	v_add_u32_e32 v12, -8, v11
	v_cmp_lt_u32_e64 s[4:5], 3, v0
	v_subrev_u32_e32 v13, 32, v10
	v_add_u32_e32 v14, -16, v11
	v_cmp_lt_u32_e64 s[22:23], 7, v0
	v_subrev_u32_e32 v15, 64, v10
	v_subrev_u32_e32 v16, 32, v11
	v_cmp_lt_u32_e64 s[8:9], 15, v0
	v_add_u32_e32 v17, 0xffffff80, v10
	v_subrev_u32_e32 v18, 64, v11
	v_cmp_lt_u32_e64 s[10:11], 31, v0
	v_add_u32_e32 v19, 0xffffff00, v10
	v_add_u32_e32 v20, 0xffffff80, v11
	v_cmp_lt_u32_e64 s[12:13], 63, v0
	v_add_u32_e32 v21, 0xfffffe00, v10
	v_add_u32_e32 v22, 0xffffff00, v11
	;; [unrolled: 1-line block ×7, first 2 shown]
	v_addc_co_u32_e32 v5, vcc, 0, v5, vcc
	v_add_u32_e32 v28, 0xfffff800, v11
	v_cmp_ne_u32_e64 s[20:21], s6, v0
	s_mov_b64 s[24:25], 0
	s_branch .LBB17_3
.LBB17_2:                               ;   in Loop: Header=BB17_3 Depth=1
	s_or_b64 exec, exec, s[6:7]
	v_add_co_u32_e32 v0, vcc, 0x400, v0
	v_addc_co_u32_e32 v1, vcc, 0, v1, vcc
	v_add_co_u32_e32 v2, vcc, 0x1000, v2
	v_addc_co_u32_e32 v3, vcc, 0, v3, vcc
	v_cmp_le_i64_e64 s[6:7], s[34:35], v[0:1]
	v_add_co_u32_e32 v4, vcc, 0x2000, v4
	s_or_b64 s[24:25], s[6:7], s[24:25]
	v_addc_co_u32_e32 v5, vcc, 0, v5, vcc
	s_waitcnt vmcnt(0)
	s_barrier
	s_andn2_b64 exec, exec, s[24:25]
	s_cbranch_execz .LBB17_50
.LBB17_3:                               ; =>This Inner Loop Header: Depth=1
	global_load_dwordx2 v[7:8], v[4:5], off
	global_load_dword v9, v[2:3], off
	v_mov_b32_e32 v6, 0
	s_waitcnt vmcnt(1)
	ds_write_b64 v10, v[7:8]
	s_waitcnt vmcnt(0)
	ds_write_b32 v11, v9
	v_mov_b32_e32 v7, 0
	s_waitcnt lgkmcnt(0)
	s_barrier
	s_and_saveexec_b64 s[6:7], s[0:1]
	s_cbranch_execz .LBB17_7
; %bb.4:                                ;   in Loop: Header=BB17_3 Depth=1
	v_add_u32_e32 v7, -8, v10
	ds_read2_b64 v[29:32], v7 offset1:1
	v_mov_b32_e32 v7, 0
	s_waitcnt lgkmcnt(0)
	v_cmp_eq_u64_e32 vcc, v[31:32], v[29:30]
	s_and_saveexec_b64 s[26:27], vcc
; %bb.5:                                ;   in Loop: Header=BB17_3 Depth=1
	v_add_u32_e32 v7, -4, v11
	ds_read_b32 v7, v7
; %bb.6:                                ;   in Loop: Header=BB17_3 Depth=1
	s_or_b64 exec, exec, s[26:27]
.LBB17_7:                               ;   in Loop: Header=BB17_3 Depth=1
	s_or_b64 exec, exec, s[6:7]
	s_waitcnt lgkmcnt(0)
	s_barrier
	ds_read_b32 v8, v11
	s_waitcnt lgkmcnt(0)
	v_add_u32_e32 v7, v8, v7
	ds_write_b32 v11, v7
	s_waitcnt lgkmcnt(0)
	s_barrier
	s_and_saveexec_b64 s[6:7], s[2:3]
	s_cbranch_execz .LBB17_11
; %bb.8:                                ;   in Loop: Header=BB17_3 Depth=1
	v_add_u32_e32 v8, -16, v10
	ds_read_b64 v[6:7], v10
	ds_read_b64 v[8:9], v8
	s_waitcnt lgkmcnt(0)
	v_cmp_eq_u64_e32 vcc, v[6:7], v[8:9]
	v_mov_b32_e32 v6, 0
	s_and_saveexec_b64 s[26:27], vcc
; %bb.9:                                ;   in Loop: Header=BB17_3 Depth=1
	ds_read_b32 v6, v12
; %bb.10:                               ;   in Loop: Header=BB17_3 Depth=1
	s_or_b64 exec, exec, s[26:27]
.LBB17_11:                              ;   in Loop: Header=BB17_3 Depth=1
	s_or_b64 exec, exec, s[6:7]
	s_waitcnt lgkmcnt(0)
	s_barrier
	ds_read_b32 v7, v11
	s_waitcnt lgkmcnt(0)
	v_add_u32_e32 v6, v7, v6
	ds_write_b32 v11, v6
	v_mov_b32_e32 v6, 0
	v_mov_b32_e32 v7, 0
	s_waitcnt lgkmcnt(0)
	s_barrier
	s_and_saveexec_b64 s[6:7], s[4:5]
	s_cbranch_execz .LBB17_15
; %bb.12:                               ;   in Loop: Header=BB17_3 Depth=1
	ds_read_b64 v[7:8], v10
	ds_read_b64 v[29:30], v13
	s_waitcnt lgkmcnt(0)
	v_cmp_eq_u64_e32 vcc, v[7:8], v[29:30]
	v_mov_b32_e32 v7, 0
	s_and_saveexec_b64 s[26:27], vcc
; %bb.13:                               ;   in Loop: Header=BB17_3 Depth=1
	ds_read_b32 v7, v14
; %bb.14:                               ;   in Loop: Header=BB17_3 Depth=1
	s_or_b64 exec, exec, s[26:27]
.LBB17_15:                              ;   in Loop: Header=BB17_3 Depth=1
	s_or_b64 exec, exec, s[6:7]
	s_waitcnt lgkmcnt(0)
	s_barrier
	ds_read_b32 v8, v11
	s_waitcnt lgkmcnt(0)
	v_add_u32_e32 v7, v8, v7
	ds_write_b32 v11, v7
	s_waitcnt lgkmcnt(0)
	s_barrier
	s_and_saveexec_b64 s[6:7], s[22:23]
	s_cbranch_execz .LBB17_19
; %bb.16:                               ;   in Loop: Header=BB17_3 Depth=1
	ds_read_b64 v[6:7], v10
	ds_read_b64 v[8:9], v15
	s_waitcnt lgkmcnt(0)
	v_cmp_eq_u64_e32 vcc, v[6:7], v[8:9]
	v_mov_b32_e32 v6, 0
	s_and_saveexec_b64 s[26:27], vcc
; %bb.17:                               ;   in Loop: Header=BB17_3 Depth=1
	ds_read_b32 v6, v16
; %bb.18:                               ;   in Loop: Header=BB17_3 Depth=1
	s_or_b64 exec, exec, s[26:27]
.LBB17_19:                              ;   in Loop: Header=BB17_3 Depth=1
	s_or_b64 exec, exec, s[6:7]
	s_waitcnt lgkmcnt(0)
	s_barrier
	ds_read_b32 v7, v11
	s_waitcnt lgkmcnt(0)
	v_add_u32_e32 v6, v7, v6
	ds_write_b32 v11, v6
	v_mov_b32_e32 v6, 0
	v_mov_b32_e32 v7, 0
	s_waitcnt lgkmcnt(0)
	s_barrier
	s_and_saveexec_b64 s[6:7], s[8:9]
	s_cbranch_execz .LBB17_23
; %bb.20:                               ;   in Loop: Header=BB17_3 Depth=1
	ds_read_b64 v[7:8], v10
	ds_read_b64 v[29:30], v17
	s_waitcnt lgkmcnt(0)
	v_cmp_eq_u64_e32 vcc, v[7:8], v[29:30]
	v_mov_b32_e32 v7, 0
	s_and_saveexec_b64 s[26:27], vcc
; %bb.21:                               ;   in Loop: Header=BB17_3 Depth=1
	ds_read_b32 v7, v18
; %bb.22:                               ;   in Loop: Header=BB17_3 Depth=1
	s_or_b64 exec, exec, s[26:27]
.LBB17_23:                              ;   in Loop: Header=BB17_3 Depth=1
	s_or_b64 exec, exec, s[6:7]
	s_waitcnt lgkmcnt(0)
	s_barrier
	ds_read_b32 v8, v11
	s_waitcnt lgkmcnt(0)
	v_add_u32_e32 v7, v8, v7
	ds_write_b32 v11, v7
	s_waitcnt lgkmcnt(0)
	s_barrier
	s_and_saveexec_b64 s[6:7], s[10:11]
	s_cbranch_execz .LBB17_27
; %bb.24:                               ;   in Loop: Header=BB17_3 Depth=1
	ds_read_b64 v[6:7], v10
	ds_read_b64 v[8:9], v19
	s_waitcnt lgkmcnt(0)
	v_cmp_eq_u64_e32 vcc, v[6:7], v[8:9]
	v_mov_b32_e32 v6, 0
	s_and_saveexec_b64 s[26:27], vcc
; %bb.25:                               ;   in Loop: Header=BB17_3 Depth=1
	ds_read_b32 v6, v20
; %bb.26:                               ;   in Loop: Header=BB17_3 Depth=1
	s_or_b64 exec, exec, s[26:27]
.LBB17_27:                              ;   in Loop: Header=BB17_3 Depth=1
	;; [unrolled: 48-line block ×4, first 2 shown]
	s_or_b64 exec, exec, s[6:7]
	s_waitcnt lgkmcnt(0)
	s_barrier
	ds_read_b32 v7, v11
	v_mov_b32_e32 v8, -1
	v_mov_b32_e32 v9, -1
	s_waitcnt lgkmcnt(0)
	v_add_u32_e32 v6, v7, v6
	ds_write_b32 v11, v6
	s_waitcnt lgkmcnt(0)
	s_barrier
	ds_read_b64 v[6:7], v10
	s_and_saveexec_b64 s[6:7], s[20:21]
; %bb.44:                               ;   in Loop: Header=BB17_3 Depth=1
	ds_read_b64 v[8:9], v10 offset:8
; %bb.45:                               ;   in Loop: Header=BB17_3 Depth=1
	s_or_b64 exec, exec, s[6:7]
	s_waitcnt lgkmcnt(0)
	v_cmp_ne_u64_e32 vcc, v[6:7], v[8:9]
	v_cmp_lt_i64_e64 s[6:7], -1, v[6:7]
	s_and_b64 s[26:27], s[6:7], vcc
	s_and_saveexec_b64 s[6:7], s[26:27]
	s_cbranch_execz .LBB17_2
; %bb.46:                               ;   in Loop: Header=BB17_3 Depth=1
	s_mov_b64 s[26:27], -1
	s_and_b64 vcc, exec, s[36:37]
	s_cbranch_vccz .LBB17_48
; %bb.47:                               ;   in Loop: Header=BB17_3 Depth=1
	v_mul_lo_u32 v29, v7, s30
	v_mul_lo_u32 v30, v6, s31
	v_mad_u64_u32 v[8:9], s[26:27], v6, s30, 0
	s_mov_b64 s[26:27], 0
	v_add3_u32 v9, v9, v30, v29
	v_lshlrev_b64 v[8:9], 2, v[8:9]
	v_mov_b32_e32 v29, s38
	v_add_co_u32_e32 v8, vcc, s33, v8
	v_addc_co_u32_e32 v9, vcc, v29, v9, vcc
	global_load_dword v29, v[8:9], off
	ds_read_b32 v30, v11
	s_waitcnt vmcnt(0) lgkmcnt(0)
	v_add_u32_e32 v29, v30, v29
	global_store_dword v[8:9], v29, off
.LBB17_48:                              ;   in Loop: Header=BB17_3 Depth=1
	s_andn2_b64 vcc, exec, s[26:27]
	s_cbranch_vccnz .LBB17_2
; %bb.49:                               ;   in Loop: Header=BB17_3 Depth=1
	v_lshlrev_b64 v[6:7], 2, v[6:7]
	v_mov_b32_e32 v8, s29
	v_add_co_u32_e32 v6, vcc, s28, v6
	v_addc_co_u32_e32 v7, vcc, v8, v7, vcc
	global_load_dword v8, v[6:7], off
	ds_read_b32 v9, v11
	s_waitcnt vmcnt(0) lgkmcnt(0)
	v_add_u32_e32 v8, v9, v8
	global_store_dword v[6:7], v8, off
	s_branch .LBB17_2
.LBB17_50:
	s_endpgm
	.section	.rodata,"a",@progbits
	.p2align	6, 0x0
	.amdhsa_kernel _ZN9rocsparseL28csrmmnn_general_block_reduceILj1024ElliiEEvT0_PKT1_PKT3_PT2_l16rocsparse_order_
		.amdhsa_group_segment_fixed_size 12288
		.amdhsa_private_segment_fixed_size 0
		.amdhsa_kernarg_size 44
		.amdhsa_user_sgpr_count 6
		.amdhsa_user_sgpr_private_segment_buffer 1
		.amdhsa_user_sgpr_dispatch_ptr 0
		.amdhsa_user_sgpr_queue_ptr 0
		.amdhsa_user_sgpr_kernarg_segment_ptr 1
		.amdhsa_user_sgpr_dispatch_id 0
		.amdhsa_user_sgpr_flat_scratch_init 0
		.amdhsa_user_sgpr_private_segment_size 0
		.amdhsa_uses_dynamic_stack 0
		.amdhsa_system_sgpr_private_segment_wavefront_offset 0
		.amdhsa_system_sgpr_workgroup_id_x 1
		.amdhsa_system_sgpr_workgroup_id_y 0
		.amdhsa_system_sgpr_workgroup_id_z 0
		.amdhsa_system_sgpr_workgroup_info 0
		.amdhsa_system_vgpr_workitem_id 0
		.amdhsa_next_free_vgpr 33
		.amdhsa_next_free_sgpr 61
		.amdhsa_reserve_vcc 1
		.amdhsa_reserve_flat_scratch 0
		.amdhsa_float_round_mode_32 0
		.amdhsa_float_round_mode_16_64 0
		.amdhsa_float_denorm_mode_32 3
		.amdhsa_float_denorm_mode_16_64 3
		.amdhsa_dx10_clamp 1
		.amdhsa_ieee_mode 1
		.amdhsa_fp16_overflow 0
		.amdhsa_exception_fp_ieee_invalid_op 0
		.amdhsa_exception_fp_denorm_src 0
		.amdhsa_exception_fp_ieee_div_zero 0
		.amdhsa_exception_fp_ieee_overflow 0
		.amdhsa_exception_fp_ieee_underflow 0
		.amdhsa_exception_fp_ieee_inexact 0
		.amdhsa_exception_int_div_zero 0
	.end_amdhsa_kernel
	.section	.text._ZN9rocsparseL28csrmmnn_general_block_reduceILj1024ElliiEEvT0_PKT1_PKT3_PT2_l16rocsparse_order_,"axG",@progbits,_ZN9rocsparseL28csrmmnn_general_block_reduceILj1024ElliiEEvT0_PKT1_PKT3_PT2_l16rocsparse_order_,comdat
.Lfunc_end17:
	.size	_ZN9rocsparseL28csrmmnn_general_block_reduceILj1024ElliiEEvT0_PKT1_PKT3_PT2_l16rocsparse_order_, .Lfunc_end17-_ZN9rocsparseL28csrmmnn_general_block_reduceILj1024ElliiEEvT0_PKT1_PKT3_PT2_l16rocsparse_order_
                                        ; -- End function
	.set _ZN9rocsparseL28csrmmnn_general_block_reduceILj1024ElliiEEvT0_PKT1_PKT3_PT2_l16rocsparse_order_.num_vgpr, 33
	.set _ZN9rocsparseL28csrmmnn_general_block_reduceILj1024ElliiEEvT0_PKT1_PKT3_PT2_l16rocsparse_order_.num_agpr, 0
	.set _ZN9rocsparseL28csrmmnn_general_block_reduceILj1024ElliiEEvT0_PKT1_PKT3_PT2_l16rocsparse_order_.numbered_sgpr, 39
	.set _ZN9rocsparseL28csrmmnn_general_block_reduceILj1024ElliiEEvT0_PKT1_PKT3_PT2_l16rocsparse_order_.num_named_barrier, 0
	.set _ZN9rocsparseL28csrmmnn_general_block_reduceILj1024ElliiEEvT0_PKT1_PKT3_PT2_l16rocsparse_order_.private_seg_size, 0
	.set _ZN9rocsparseL28csrmmnn_general_block_reduceILj1024ElliiEEvT0_PKT1_PKT3_PT2_l16rocsparse_order_.uses_vcc, 1
	.set _ZN9rocsparseL28csrmmnn_general_block_reduceILj1024ElliiEEvT0_PKT1_PKT3_PT2_l16rocsparse_order_.uses_flat_scratch, 0
	.set _ZN9rocsparseL28csrmmnn_general_block_reduceILj1024ElliiEEvT0_PKT1_PKT3_PT2_l16rocsparse_order_.has_dyn_sized_stack, 0
	.set _ZN9rocsparseL28csrmmnn_general_block_reduceILj1024ElliiEEvT0_PKT1_PKT3_PT2_l16rocsparse_order_.has_recursion, 0
	.set _ZN9rocsparseL28csrmmnn_general_block_reduceILj1024ElliiEEvT0_PKT1_PKT3_PT2_l16rocsparse_order_.has_indirect_call, 0
	.section	.AMDGPU.csdata,"",@progbits
; Kernel info:
; codeLenInByte = 1780
; TotalNumSgprs: 43
; NumVgprs: 33
; ScratchSize: 0
; MemoryBound: 0
; FloatMode: 240
; IeeeMode: 1
; LDSByteSize: 12288 bytes/workgroup (compile time only)
; SGPRBlocks: 8
; VGPRBlocks: 8
; NumSGPRsForWavesPerEU: 65
; NumVGPRsForWavesPerEU: 33
; Occupancy: 7
; WaveLimiterHint : 0
; COMPUTE_PGM_RSRC2:SCRATCH_EN: 0
; COMPUTE_PGM_RSRC2:USER_SGPR: 6
; COMPUTE_PGM_RSRC2:TRAP_HANDLER: 0
; COMPUTE_PGM_RSRC2:TGID_X_EN: 1
; COMPUTE_PGM_RSRC2:TGID_Y_EN: 0
; COMPUTE_PGM_RSRC2:TGID_Z_EN: 0
; COMPUTE_PGM_RSRC2:TIDIG_COMP_CNT: 0
	.section	.AMDGPU.gpr_maximums,"",@progbits
	.set amdgpu.max_num_vgpr, 0
	.set amdgpu.max_num_agpr, 0
	.set amdgpu.max_num_sgpr, 0
	.section	.AMDGPU.csdata,"",@progbits
	.type	__hip_cuid_f454260c2b5f4c93,@object ; @__hip_cuid_f454260c2b5f4c93
	.section	.bss,"aw",@nobits
	.globl	__hip_cuid_f454260c2b5f4c93
__hip_cuid_f454260c2b5f4c93:
	.byte	0                               ; 0x0
	.size	__hip_cuid_f454260c2b5f4c93, 1

	.ident	"AMD clang version 22.0.0git (https://github.com/RadeonOpenCompute/llvm-project roc-7.2.4 26084 f58b06dce1f9c15707c5f808fd002e18c2accf7e)"
	.section	".note.GNU-stack","",@progbits
	.addrsig
	.addrsig_sym __hip_cuid_f454260c2b5f4c93
	.amdgpu_metadata
---
amdhsa.kernels:
  - .args:
      - .offset:         0
        .size:           4
        .value_kind:     by_value
      - .offset:         4
        .size:           4
        .value_kind:     by_value
      - .offset:         8
        .size:           4
        .value_kind:     by_value
      - .actual_access:  read_only
        .address_space:  global
        .offset:         16
        .size:           8
        .value_kind:     global_buffer
      - .actual_access:  write_only
        .address_space:  global
        .offset:         24
        .size:           8
        .value_kind:     global_buffer
      - .offset:         32
        .size:           4
        .value_kind:     by_value
    .group_segment_fixed_size: 0
    .kernarg_segment_align: 8
    .kernarg_segment_size: 36
    .language:       OpenCL C
    .language_version:
      - 2
      - 0
    .max_flat_workgroup_size: 256
    .name:           _ZN9rocsparseL36csrmmnn_nnz_split_compute_row_limitsILj256ELj256EiiEEvT2_T1_S2_PKS2_PS1_21rocsparse_index_base_
    .private_segment_fixed_size: 0
    .sgpr_count:     19
    .sgpr_spill_count: 0
    .symbol:         _ZN9rocsparseL36csrmmnn_nnz_split_compute_row_limitsILj256ELj256EiiEEvT2_T1_S2_PKS2_PS1_21rocsparse_index_base_.kd
    .uniform_work_group_size: 1
    .uses_dynamic_stack: false
    .vgpr_count:     10
    .vgpr_spill_count: 0
    .wavefront_size: 64
  - .args:
      - .offset:         0
        .size:           4
        .value_kind:     by_value
      - .offset:         8
        .size:           8
        .value_kind:     by_value
      - .offset:         16
        .size:           8
        .value_kind:     by_value
      - .actual_access:  read_only
        .address_space:  global
        .offset:         24
        .size:           8
        .value_kind:     global_buffer
      - .actual_access:  write_only
        .address_space:  global
        .offset:         32
        .size:           8
        .value_kind:     global_buffer
      - .offset:         40
        .size:           4
        .value_kind:     by_value
    .group_segment_fixed_size: 0
    .kernarg_segment_align: 8
    .kernarg_segment_size: 44
    .language:       OpenCL C
    .language_version:
      - 2
      - 0
    .max_flat_workgroup_size: 256
    .name:           _ZN9rocsparseL36csrmmnn_nnz_split_compute_row_limitsILj256ELj256EliEEvT2_T1_S2_PKS2_PS1_21rocsparse_index_base_
    .private_segment_fixed_size: 0
    .sgpr_count:     19
    .sgpr_spill_count: 0
    .symbol:         _ZN9rocsparseL36csrmmnn_nnz_split_compute_row_limitsILj256ELj256EliEEvT2_T1_S2_PKS2_PS1_21rocsparse_index_base_.kd
    .uniform_work_group_size: 1
    .uses_dynamic_stack: false
    .vgpr_count:     12
    .vgpr_spill_count: 0
    .wavefront_size: 64
  - .args:
      - .offset:         0
        .size:           8
        .value_kind:     by_value
      - .offset:         8
        .size:           8
        .value_kind:     by_value
      - .offset:         16
        .size:           8
        .value_kind:     by_value
      - .actual_access:  read_only
        .address_space:  global
        .offset:         24
        .size:           8
        .value_kind:     global_buffer
      - .actual_access:  write_only
        .address_space:  global
        .offset:         32
        .size:           8
        .value_kind:     global_buffer
      - .offset:         40
        .size:           4
        .value_kind:     by_value
    .group_segment_fixed_size: 0
    .kernarg_segment_align: 8
    .kernarg_segment_size: 44
    .language:       OpenCL C
    .language_version:
      - 2
      - 0
    .max_flat_workgroup_size: 256
    .name:           _ZN9rocsparseL36csrmmnn_nnz_split_compute_row_limitsILj256ELj256EllEEvT2_T1_S2_PKS2_PS1_21rocsparse_index_base_
    .private_segment_fixed_size: 0
    .sgpr_count:     20
    .sgpr_spill_count: 0
    .symbol:         _ZN9rocsparseL36csrmmnn_nnz_split_compute_row_limitsILj256ELj256EllEEvT2_T1_S2_PKS2_PS1_21rocsparse_index_base_.kd
    .uniform_work_group_size: 1
    .uses_dynamic_stack: false
    .vgpr_count:     13
    .vgpr_spill_count: 0
    .wavefront_size: 64
  - .args:
      - .offset:         0
        .size:           4
        .value_kind:     by_value
      - .actual_access:  read_only
        .address_space:  global
        .offset:         8
        .size:           8
        .value_kind:     global_buffer
      - .actual_access:  read_only
        .address_space:  global
        .offset:         16
        .size:           8
        .value_kind:     global_buffer
      - .address_space:  global
        .offset:         24
        .size:           8
        .value_kind:     global_buffer
      - .offset:         32
        .size:           8
        .value_kind:     by_value
      - .offset:         40
        .size:           4
        .value_kind:     by_value
    .group_segment_fixed_size: 8192
    .kernarg_segment_align: 8
    .kernarg_segment_size: 44
    .language:       OpenCL C
    .language_version:
      - 2
      - 0
    .max_flat_workgroup_size: 1024
    .name:           _ZN9rocsparseL28csrmmnn_general_block_reduceILj1024EiiffEEvT0_PKT1_PKT3_PT2_l16rocsparse_order_
    .private_segment_fixed_size: 0
    .sgpr_count:     47
    .sgpr_spill_count: 0
    .symbol:         _ZN9rocsparseL28csrmmnn_general_block_reduceILj1024EiiffEEvT0_PKT1_PKT3_PT2_l16rocsparse_order_.kd
    .uniform_work_group_size: 1
    .uses_dynamic_stack: false
    .vgpr_count:     31
    .vgpr_spill_count: 0
    .wavefront_size: 64
  - .args:
      - .offset:         0
        .size:           8
        .value_kind:     by_value
      - .actual_access:  read_only
        .address_space:  global
        .offset:         8
        .size:           8
        .value_kind:     global_buffer
      - .actual_access:  read_only
        .address_space:  global
        .offset:         16
        .size:           8
        .value_kind:     global_buffer
      - .address_space:  global
        .offset:         24
        .size:           8
        .value_kind:     global_buffer
      - .offset:         32
        .size:           8
        .value_kind:     by_value
      - .offset:         40
        .size:           4
        .value_kind:     by_value
    .group_segment_fixed_size: 12288
    .kernarg_segment_align: 8
    .kernarg_segment_size: 44
    .language:       OpenCL C
    .language_version:
      - 2
      - 0
    .max_flat_workgroup_size: 1024
    .name:           _ZN9rocsparseL28csrmmnn_general_block_reduceILj1024EliffEEvT0_PKT1_PKT3_PT2_l16rocsparse_order_
    .private_segment_fixed_size: 0
    .sgpr_count:     43
    .sgpr_spill_count: 0
    .symbol:         _ZN9rocsparseL28csrmmnn_general_block_reduceILj1024EliffEEvT0_PKT1_PKT3_PT2_l16rocsparse_order_.kd
    .uniform_work_group_size: 1
    .uses_dynamic_stack: false
    .vgpr_count:     33
    .vgpr_spill_count: 0
    .wavefront_size: 64
  - .args:
      - .offset:         0
        .size:           8
        .value_kind:     by_value
      - .actual_access:  read_only
        .address_space:  global
        .offset:         8
        .size:           8
        .value_kind:     global_buffer
      - .actual_access:  read_only
        .address_space:  global
        .offset:         16
        .size:           8
        .value_kind:     global_buffer
      - .address_space:  global
        .offset:         24
        .size:           8
        .value_kind:     global_buffer
      - .offset:         32
        .size:           8
        .value_kind:     by_value
      - .offset:         40
        .size:           4
        .value_kind:     by_value
    .group_segment_fixed_size: 12288
    .kernarg_segment_align: 8
    .kernarg_segment_size: 44
    .language:       OpenCL C
    .language_version:
      - 2
      - 0
    .max_flat_workgroup_size: 1024
    .name:           _ZN9rocsparseL28csrmmnn_general_block_reduceILj1024EllffEEvT0_PKT1_PKT3_PT2_l16rocsparse_order_
    .private_segment_fixed_size: 0
    .sgpr_count:     43
    .sgpr_spill_count: 0
    .symbol:         _ZN9rocsparseL28csrmmnn_general_block_reduceILj1024EllffEEvT0_PKT1_PKT3_PT2_l16rocsparse_order_.kd
    .uniform_work_group_size: 1
    .uses_dynamic_stack: false
    .vgpr_count:     33
    .vgpr_spill_count: 0
    .wavefront_size: 64
  - .args:
      - .offset:         0
        .size:           4
        .value_kind:     by_value
      - .actual_access:  read_only
        .address_space:  global
        .offset:         8
        .size:           8
        .value_kind:     global_buffer
      - .actual_access:  read_only
        .address_space:  global
        .offset:         16
        .size:           8
        .value_kind:     global_buffer
      - .address_space:  global
        .offset:         24
        .size:           8
        .value_kind:     global_buffer
      - .offset:         32
        .size:           8
        .value_kind:     by_value
      - .offset:         40
        .size:           4
        .value_kind:     by_value
    .group_segment_fixed_size: 12288
    .kernarg_segment_align: 8
    .kernarg_segment_size: 44
    .language:       OpenCL C
    .language_version:
      - 2
      - 0
    .max_flat_workgroup_size: 1024
    .name:           _ZN9rocsparseL28csrmmnn_general_block_reduceILj1024EiiddEEvT0_PKT1_PKT3_PT2_l16rocsparse_order_
    .private_segment_fixed_size: 0
    .sgpr_count:     47
    .sgpr_spill_count: 0
    .symbol:         _ZN9rocsparseL28csrmmnn_general_block_reduceILj1024EiiddEEvT0_PKT1_PKT3_PT2_l16rocsparse_order_.kd
    .uniform_work_group_size: 1
    .uses_dynamic_stack: false
    .vgpr_count:     30
    .vgpr_spill_count: 0
    .wavefront_size: 64
  - .args:
      - .offset:         0
        .size:           8
        .value_kind:     by_value
      - .actual_access:  read_only
        .address_space:  global
        .offset:         8
        .size:           8
        .value_kind:     global_buffer
      - .actual_access:  read_only
        .address_space:  global
        .offset:         16
        .size:           8
        .value_kind:     global_buffer
      - .address_space:  global
        .offset:         24
        .size:           8
        .value_kind:     global_buffer
      - .offset:         32
        .size:           8
        .value_kind:     by_value
      - .offset:         40
        .size:           4
        .value_kind:     by_value
    .group_segment_fixed_size: 16384
    .kernarg_segment_align: 8
    .kernarg_segment_size: 44
    .language:       OpenCL C
    .language_version:
      - 2
      - 0
    .max_flat_workgroup_size: 1024
    .name:           _ZN9rocsparseL28csrmmnn_general_block_reduceILj1024EliddEEvT0_PKT1_PKT3_PT2_l16rocsparse_order_
    .private_segment_fixed_size: 0
    .sgpr_count:     43
    .sgpr_spill_count: 0
    .symbol:         _ZN9rocsparseL28csrmmnn_general_block_reduceILj1024EliddEEvT0_PKT1_PKT3_PT2_l16rocsparse_order_.kd
    .uniform_work_group_size: 1
    .uses_dynamic_stack: false
    .vgpr_count:     34
    .vgpr_spill_count: 0
    .wavefront_size: 64
  - .args:
      - .offset:         0
        .size:           8
        .value_kind:     by_value
      - .actual_access:  read_only
        .address_space:  global
        .offset:         8
        .size:           8
        .value_kind:     global_buffer
      - .actual_access:  read_only
        .address_space:  global
        .offset:         16
        .size:           8
        .value_kind:     global_buffer
      - .address_space:  global
        .offset:         24
        .size:           8
        .value_kind:     global_buffer
      - .offset:         32
        .size:           8
        .value_kind:     by_value
      - .offset:         40
        .size:           4
        .value_kind:     by_value
    .group_segment_fixed_size: 16384
    .kernarg_segment_align: 8
    .kernarg_segment_size: 44
    .language:       OpenCL C
    .language_version:
      - 2
      - 0
    .max_flat_workgroup_size: 1024
    .name:           _ZN9rocsparseL28csrmmnn_general_block_reduceILj1024EllddEEvT0_PKT1_PKT3_PT2_l16rocsparse_order_
    .private_segment_fixed_size: 0
    .sgpr_count:     43
    .sgpr_spill_count: 0
    .symbol:         _ZN9rocsparseL28csrmmnn_general_block_reduceILj1024EllddEEvT0_PKT1_PKT3_PT2_l16rocsparse_order_.kd
    .uniform_work_group_size: 1
    .uses_dynamic_stack: false
    .vgpr_count:     34
    .vgpr_spill_count: 0
    .wavefront_size: 64
  - .args:
      - .offset:         0
        .size:           4
        .value_kind:     by_value
      - .actual_access:  read_only
        .address_space:  global
        .offset:         8
        .size:           8
        .value_kind:     global_buffer
      - .actual_access:  read_only
        .address_space:  global
        .offset:         16
        .size:           8
        .value_kind:     global_buffer
      - .address_space:  global
        .offset:         24
        .size:           8
        .value_kind:     global_buffer
      - .offset:         32
        .size:           8
        .value_kind:     by_value
      - .offset:         40
        .size:           4
        .value_kind:     by_value
    .group_segment_fixed_size: 12288
    .kernarg_segment_align: 8
    .kernarg_segment_size: 44
    .language:       OpenCL C
    .language_version:
      - 2
      - 0
    .max_flat_workgroup_size: 1024
    .name:           _ZN9rocsparseL28csrmmnn_general_block_reduceILj1024Eii21rocsparse_complex_numIfES2_EEvT0_PKT1_PKT3_PT2_l16rocsparse_order_
    .private_segment_fixed_size: 0
    .sgpr_count:     47
    .sgpr_spill_count: 0
    .symbol:         _ZN9rocsparseL28csrmmnn_general_block_reduceILj1024Eii21rocsparse_complex_numIfES2_EEvT0_PKT1_PKT3_PT2_l16rocsparse_order_.kd
    .uniform_work_group_size: 1
    .uses_dynamic_stack: false
    .vgpr_count:     31
    .vgpr_spill_count: 0
    .wavefront_size: 64
  - .args:
      - .offset:         0
        .size:           8
        .value_kind:     by_value
      - .actual_access:  read_only
        .address_space:  global
        .offset:         8
        .size:           8
        .value_kind:     global_buffer
      - .actual_access:  read_only
        .address_space:  global
        .offset:         16
        .size:           8
        .value_kind:     global_buffer
      - .address_space:  global
        .offset:         24
        .size:           8
        .value_kind:     global_buffer
      - .offset:         32
        .size:           8
        .value_kind:     by_value
      - .offset:         40
        .size:           4
        .value_kind:     by_value
    .group_segment_fixed_size: 16384
    .kernarg_segment_align: 8
    .kernarg_segment_size: 44
    .language:       OpenCL C
    .language_version:
      - 2
      - 0
    .max_flat_workgroup_size: 1024
    .name:           _ZN9rocsparseL28csrmmnn_general_block_reduceILj1024Eli21rocsparse_complex_numIfES2_EEvT0_PKT1_PKT3_PT2_l16rocsparse_order_
    .private_segment_fixed_size: 0
    .sgpr_count:     43
    .sgpr_spill_count: 0
    .symbol:         _ZN9rocsparseL28csrmmnn_general_block_reduceILj1024Eli21rocsparse_complex_numIfES2_EEvT0_PKT1_PKT3_PT2_l16rocsparse_order_.kd
    .uniform_work_group_size: 1
    .uses_dynamic_stack: false
    .vgpr_count:     35
    .vgpr_spill_count: 0
    .wavefront_size: 64
  - .args:
      - .offset:         0
        .size:           8
        .value_kind:     by_value
      - .actual_access:  read_only
        .address_space:  global
        .offset:         8
        .size:           8
        .value_kind:     global_buffer
      - .actual_access:  read_only
        .address_space:  global
        .offset:         16
        .size:           8
        .value_kind:     global_buffer
      - .address_space:  global
        .offset:         24
        .size:           8
        .value_kind:     global_buffer
      - .offset:         32
        .size:           8
        .value_kind:     by_value
      - .offset:         40
        .size:           4
        .value_kind:     by_value
    .group_segment_fixed_size: 16384
    .kernarg_segment_align: 8
    .kernarg_segment_size: 44
    .language:       OpenCL C
    .language_version:
      - 2
      - 0
    .max_flat_workgroup_size: 1024
    .name:           _ZN9rocsparseL28csrmmnn_general_block_reduceILj1024Ell21rocsparse_complex_numIfES2_EEvT0_PKT1_PKT3_PT2_l16rocsparse_order_
    .private_segment_fixed_size: 0
    .sgpr_count:     43
    .sgpr_spill_count: 0
    .symbol:         _ZN9rocsparseL28csrmmnn_general_block_reduceILj1024Ell21rocsparse_complex_numIfES2_EEvT0_PKT1_PKT3_PT2_l16rocsparse_order_.kd
    .uniform_work_group_size: 1
    .uses_dynamic_stack: false
    .vgpr_count:     35
    .vgpr_spill_count: 0
    .wavefront_size: 64
  - .args:
      - .offset:         0
        .size:           4
        .value_kind:     by_value
      - .actual_access:  read_only
        .address_space:  global
        .offset:         8
        .size:           8
        .value_kind:     global_buffer
      - .actual_access:  read_only
        .address_space:  global
        .offset:         16
        .size:           8
        .value_kind:     global_buffer
      - .address_space:  global
        .offset:         24
        .size:           8
        .value_kind:     global_buffer
      - .offset:         32
        .size:           8
        .value_kind:     by_value
      - .offset:         40
        .size:           4
        .value_kind:     by_value
    .group_segment_fixed_size: 20480
    .kernarg_segment_align: 8
    .kernarg_segment_size: 44
    .language:       OpenCL C
    .language_version:
      - 2
      - 0
    .max_flat_workgroup_size: 1024
    .name:           _ZN9rocsparseL28csrmmnn_general_block_reduceILj1024Eii21rocsparse_complex_numIdES2_EEvT0_PKT1_PKT3_PT2_l16rocsparse_order_
    .private_segment_fixed_size: 0
    .sgpr_count:     47
    .sgpr_spill_count: 0
    .symbol:         _ZN9rocsparseL28csrmmnn_general_block_reduceILj1024Eii21rocsparse_complex_numIdES2_EEvT0_PKT1_PKT3_PT2_l16rocsparse_order_.kd
    .uniform_work_group_size: 1
    .uses_dynamic_stack: false
    .vgpr_count:     36
    .vgpr_spill_count: 0
    .wavefront_size: 64
  - .args:
      - .offset:         0
        .size:           8
        .value_kind:     by_value
      - .actual_access:  read_only
        .address_space:  global
        .offset:         8
        .size:           8
        .value_kind:     global_buffer
      - .actual_access:  read_only
        .address_space:  global
        .offset:         16
        .size:           8
        .value_kind:     global_buffer
      - .address_space:  global
        .offset:         24
        .size:           8
        .value_kind:     global_buffer
      - .offset:         32
        .size:           8
        .value_kind:     by_value
      - .offset:         40
        .size:           4
        .value_kind:     by_value
    .group_segment_fixed_size: 24576
    .kernarg_segment_align: 8
    .kernarg_segment_size: 44
    .language:       OpenCL C
    .language_version:
      - 2
      - 0
    .max_flat_workgroup_size: 1024
    .name:           _ZN9rocsparseL28csrmmnn_general_block_reduceILj1024Eli21rocsparse_complex_numIdES2_EEvT0_PKT1_PKT3_PT2_l16rocsparse_order_
    .private_segment_fixed_size: 0
    .sgpr_count:     43
    .sgpr_spill_count: 0
    .symbol:         _ZN9rocsparseL28csrmmnn_general_block_reduceILj1024Eli21rocsparse_complex_numIdES2_EEvT0_PKT1_PKT3_PT2_l16rocsparse_order_.kd
    .uniform_work_group_size: 1
    .uses_dynamic_stack: false
    .vgpr_count:     38
    .vgpr_spill_count: 0
    .wavefront_size: 64
  - .args:
      - .offset:         0
        .size:           8
        .value_kind:     by_value
      - .actual_access:  read_only
        .address_space:  global
        .offset:         8
        .size:           8
        .value_kind:     global_buffer
      - .actual_access:  read_only
        .address_space:  global
        .offset:         16
        .size:           8
        .value_kind:     global_buffer
      - .address_space:  global
        .offset:         24
        .size:           8
        .value_kind:     global_buffer
      - .offset:         32
        .size:           8
        .value_kind:     by_value
      - .offset:         40
        .size:           4
        .value_kind:     by_value
    .group_segment_fixed_size: 24576
    .kernarg_segment_align: 8
    .kernarg_segment_size: 44
    .language:       OpenCL C
    .language_version:
      - 2
      - 0
    .max_flat_workgroup_size: 1024
    .name:           _ZN9rocsparseL28csrmmnn_general_block_reduceILj1024Ell21rocsparse_complex_numIdES2_EEvT0_PKT1_PKT3_PT2_l16rocsparse_order_
    .private_segment_fixed_size: 0
    .sgpr_count:     43
    .sgpr_spill_count: 0
    .symbol:         _ZN9rocsparseL28csrmmnn_general_block_reduceILj1024Ell21rocsparse_complex_numIdES2_EEvT0_PKT1_PKT3_PT2_l16rocsparse_order_.kd
    .uniform_work_group_size: 1
    .uses_dynamic_stack: false
    .vgpr_count:     38
    .vgpr_spill_count: 0
    .wavefront_size: 64
  - .args:
      - .offset:         0
        .size:           4
        .value_kind:     by_value
      - .actual_access:  read_only
        .address_space:  global
        .offset:         8
        .size:           8
        .value_kind:     global_buffer
      - .actual_access:  read_only
        .address_space:  global
        .offset:         16
        .size:           8
        .value_kind:     global_buffer
      - .address_space:  global
        .offset:         24
        .size:           8
        .value_kind:     global_buffer
      - .offset:         32
        .size:           8
        .value_kind:     by_value
      - .offset:         40
        .size:           4
        .value_kind:     by_value
    .group_segment_fixed_size: 8192
    .kernarg_segment_align: 8
    .kernarg_segment_size: 44
    .language:       OpenCL C
    .language_version:
      - 2
      - 0
    .max_flat_workgroup_size: 1024
    .name:           _ZN9rocsparseL28csrmmnn_general_block_reduceILj1024EiiiiEEvT0_PKT1_PKT3_PT2_l16rocsparse_order_
    .private_segment_fixed_size: 0
    .sgpr_count:     47
    .sgpr_spill_count: 0
    .symbol:         _ZN9rocsparseL28csrmmnn_general_block_reduceILj1024EiiiiEEvT0_PKT1_PKT3_PT2_l16rocsparse_order_.kd
    .uniform_work_group_size: 1
    .uses_dynamic_stack: false
    .vgpr_count:     31
    .vgpr_spill_count: 0
    .wavefront_size: 64
  - .args:
      - .offset:         0
        .size:           8
        .value_kind:     by_value
      - .actual_access:  read_only
        .address_space:  global
        .offset:         8
        .size:           8
        .value_kind:     global_buffer
      - .actual_access:  read_only
        .address_space:  global
        .offset:         16
        .size:           8
        .value_kind:     global_buffer
      - .address_space:  global
        .offset:         24
        .size:           8
        .value_kind:     global_buffer
      - .offset:         32
        .size:           8
        .value_kind:     by_value
      - .offset:         40
        .size:           4
        .value_kind:     by_value
    .group_segment_fixed_size: 12288
    .kernarg_segment_align: 8
    .kernarg_segment_size: 44
    .language:       OpenCL C
    .language_version:
      - 2
      - 0
    .max_flat_workgroup_size: 1024
    .name:           _ZN9rocsparseL28csrmmnn_general_block_reduceILj1024EliiiEEvT0_PKT1_PKT3_PT2_l16rocsparse_order_
    .private_segment_fixed_size: 0
    .sgpr_count:     43
    .sgpr_spill_count: 0
    .symbol:         _ZN9rocsparseL28csrmmnn_general_block_reduceILj1024EliiiEEvT0_PKT1_PKT3_PT2_l16rocsparse_order_.kd
    .uniform_work_group_size: 1
    .uses_dynamic_stack: false
    .vgpr_count:     33
    .vgpr_spill_count: 0
    .wavefront_size: 64
  - .args:
      - .offset:         0
        .size:           8
        .value_kind:     by_value
      - .actual_access:  read_only
        .address_space:  global
        .offset:         8
        .size:           8
        .value_kind:     global_buffer
      - .actual_access:  read_only
        .address_space:  global
        .offset:         16
        .size:           8
        .value_kind:     global_buffer
      - .address_space:  global
        .offset:         24
        .size:           8
        .value_kind:     global_buffer
      - .offset:         32
        .size:           8
        .value_kind:     by_value
      - .offset:         40
        .size:           4
        .value_kind:     by_value
    .group_segment_fixed_size: 12288
    .kernarg_segment_align: 8
    .kernarg_segment_size: 44
    .language:       OpenCL C
    .language_version:
      - 2
      - 0
    .max_flat_workgroup_size: 1024
    .name:           _ZN9rocsparseL28csrmmnn_general_block_reduceILj1024ElliiEEvT0_PKT1_PKT3_PT2_l16rocsparse_order_
    .private_segment_fixed_size: 0
    .sgpr_count:     43
    .sgpr_spill_count: 0
    .symbol:         _ZN9rocsparseL28csrmmnn_general_block_reduceILj1024ElliiEEvT0_PKT1_PKT3_PT2_l16rocsparse_order_.kd
    .uniform_work_group_size: 1
    .uses_dynamic_stack: false
    .vgpr_count:     33
    .vgpr_spill_count: 0
    .wavefront_size: 64
amdhsa.target:   amdgcn-amd-amdhsa--gfx906
amdhsa.version:
  - 1
  - 2
...

	.end_amdgpu_metadata
